;; amdgpu-corpus repo=ROCm/rocFFT kind=compiled arch=gfx906 opt=O3
	.text
	.amdgcn_target "amdgcn-amd-amdhsa--gfx906"
	.amdhsa_code_object_version 6
	.protected	bluestein_single_back_len1260_dim1_half_op_CI_CI ; -- Begin function bluestein_single_back_len1260_dim1_half_op_CI_CI
	.globl	bluestein_single_back_len1260_dim1_half_op_CI_CI
	.p2align	8
	.type	bluestein_single_back_len1260_dim1_half_op_CI_CI,@function
bluestein_single_back_len1260_dim1_half_op_CI_CI: ; @bluestein_single_back_len1260_dim1_half_op_CI_CI
; %bb.0:
	s_load_dwordx4 s[8:11], s[4:5], 0x28
	v_mul_u32_u24_e32 v1, 0x411, v0
	v_add_u32_sdwa v28, s6, v1 dst_sel:DWORD dst_unused:UNUSED_PAD src0_sel:DWORD src1_sel:WORD_1
	v_mov_b32_e32 v29, 0
	s_waitcnt lgkmcnt(0)
	v_cmp_gt_u64_e32 vcc, s[8:9], v[28:29]
	s_and_saveexec_b64 s[0:1], vcc
	s_cbranch_execz .LBB0_26
; %bb.1:
	s_load_dwordx4 s[0:3], s[4:5], 0x18
	s_load_dwordx4 s[12:15], s[4:5], 0x0
	v_mov_b32_e32 v2, 63
	v_mul_lo_u16_sdwa v1, v1, v2 dst_sel:DWORD dst_unused:UNUSED_PAD src0_sel:WORD_1 src1_sel:DWORD
	v_sub_u16_e32 v93, v0, v1
	s_waitcnt lgkmcnt(0)
	s_load_dwordx4 s[16:19], s[0:1], 0x0
	v_lshlrev_b32_e32 v73, 2, v93
	global_load_dword v94, v73, s[12:13]
	v_mov_b32_e32 v10, s13
	v_add_u32_e32 v27, 0x600, v73
	s_waitcnt lgkmcnt(0)
	v_mad_u64_u32 v[0:1], s[0:1], s18, v28, 0
	v_mad_u64_u32 v[2:3], s[0:1], s16, v93, 0
	s_mul_i32 s6, s16, 0x9d8
	s_mul_hi_u32 s7, s16, 0xfffff724
	v_mad_u64_u32 v[4:5], s[0:1], s19, v28, v[1:2]
	s_sub_i32 s7, s7, s16
	v_add_u32_e32 v37, 0xa00, v73
	v_mad_u64_u32 v[5:6], s[0:1], s17, v93, v[3:4]
	v_mov_b32_e32 v1, v4
	v_lshlrev_b64 v[0:1], 2, v[0:1]
	v_mov_b32_e32 v6, s11
	v_mov_b32_e32 v3, v5
	v_add_co_u32_e32 v4, vcc, s10, v0
	v_addc_co_u32_e32 v5, vcc, v6, v1, vcc
	v_lshlrev_b64 v[0:1], 2, v[2:3]
	s_mul_i32 s0, s17, 0x9d8
	v_add_co_u32_e32 v0, vcc, v4, v0
	v_addc_co_u32_e32 v1, vcc, v5, v1, vcc
	s_mul_hi_u32 s1, s16, 0x9d8
	global_load_dword v2, v[0:1], off
	s_add_i32 s1, s1, s0
	v_mov_b32_e32 v3, s1
	v_add_co_u32_e32 v0, vcc, s6, v0
	v_addc_co_u32_e32 v1, vcc, v1, v3, vcc
	global_load_dword v3, v[0:1], off
	global_load_dword v92, v73, s[12:13] offset:2520
	s_mul_i32 s0, s17, 0xfffff724
	s_add_i32 s7, s7, s0
	s_mulk_i32 s16, 0xf724
	v_mov_b32_e32 v4, s7
	v_add_co_u32_e32 v0, vcc, s16, v0
	v_addc_co_u32_e32 v1, vcc, v1, v4, vcc
	global_load_dword v4, v[0:1], off
	global_load_dword v91, v73, s[12:13] offset:252
	v_mov_b32_e32 v5, s1
	v_add_co_u32_e32 v0, vcc, s6, v0
	v_addc_co_u32_e32 v1, vcc, v1, v5, vcc
	global_load_dword v5, v[0:1], off
	global_load_dword v90, v73, s[12:13] offset:2772
	;; [unrolled: 5-line block ×6, first 2 shown]
	s_load_dwordx4 s[8:11], s[2:3], 0x0
	global_load_dword v85, v73, s[12:13] offset:1008
	global_load_dword v83, v73, s[12:13] offset:1260
	;; [unrolled: 1-line block ×8, first 2 shown]
	v_add_co_u32_e32 v11, vcc, s12, v73
	s_movk_i32 s0, 0x7e
	v_addc_co_u32_e32 v10, vcc, 0, v10, vcc
	v_add_co_u32_e32 v47, vcc, s0, v93
	s_movk_i32 s0, 0xbd
	v_add_co_u32_e32 v19, vcc, 63, v93
	v_add_co_u32_e32 v18, vcc, s0, v93
	;; [unrolled: 1-line block ×3, first 2 shown]
	s_movk_i32 s0, 0x1000
	v_mov_b32_e32 v16, s7
	v_mov_b32_e32 v17, s1
	v_add_u32_e32 v38, 0xe00, v73
	v_lshlrev_b32_e32 v39, 1, v93
	v_lshlrev_b32_e32 v96, 3, v93
	;; [unrolled: 1-line block ×5, first 2 shown]
	v_add_u32_e32 v153, 0x237, v93
	v_add_u32_e32 v154, 0x1b9, v93
	v_and_b32_e32 v40, 1, v154
	v_add_u32_e32 v155, 0x3f0, v39
	s_load_dwordx2 s[4:5], s[4:5], 0x38
	s_waitcnt vmcnt(22)
	v_lshrrev_b32_e32 v12, 16, v2
	v_mul_f16_sdwa v13, v94, v2 dst_sel:DWORD dst_unused:UNUSED_PAD src0_sel:WORD_1 src1_sel:DWORD
	v_mul_f16_sdwa v14, v94, v12 dst_sel:DWORD dst_unused:UNUSED_PAD src0_sel:WORD_1 src1_sel:DWORD
	v_fma_f16 v12, v94, v12, -v13
	v_fma_f16 v2, v94, v2, v14
	v_pack_b32_f16 v2, v2, v12
	s_waitcnt vmcnt(21)
	v_lshrrev_b32_e32 v13, 16, v3
	s_waitcnt vmcnt(20)
	v_mul_f16_sdwa v12, v92, v13 dst_sel:DWORD dst_unused:UNUSED_PAD src0_sel:WORD_1 src1_sel:DWORD
	v_fma_f16 v12, v92, v3, v12
	v_mul_f16_sdwa v3, v92, v3 dst_sel:DWORD dst_unused:UNUSED_PAD src0_sel:WORD_1 src1_sel:DWORD
	v_fma_f16 v3, v92, v13, -v3
	v_pack_b32_f16 v3, v12, v3
	ds_write_b32 v73, v3 offset:2520
	s_waitcnt vmcnt(19)
	v_lshrrev_b32_e32 v3, 16, v4
	s_waitcnt vmcnt(18)
	v_mul_f16_sdwa v12, v91, v3 dst_sel:DWORD dst_unused:UNUSED_PAD src0_sel:WORD_1 src1_sel:DWORD
	v_fma_f16 v12, v91, v4, v12
	v_mul_f16_sdwa v4, v91, v4 dst_sel:DWORD dst_unused:UNUSED_PAD src0_sel:WORD_1 src1_sel:DWORD
	v_fma_f16 v3, v91, v3, -v4
	v_pack_b32_f16 v3, v12, v3
	ds_write2_b32 v73, v2, v3 offset1:63
	s_waitcnt vmcnt(17)
	v_lshrrev_b32_e32 v2, 16, v5
	s_waitcnt vmcnt(16)
	v_mul_f16_sdwa v3, v90, v2 dst_sel:DWORD dst_unused:UNUSED_PAD src0_sel:WORD_1 src1_sel:DWORD
	v_mul_f16_sdwa v4, v90, v5 dst_sel:DWORD dst_unused:UNUSED_PAD src0_sel:WORD_1 src1_sel:DWORD
	v_fma_f16 v3, v90, v5, v3
	v_fma_f16 v2, v90, v2, -v4
	v_pack_b32_f16 v3, v3, v2
	s_waitcnt vmcnt(15)
	v_lshrrev_b32_e32 v2, 16, v6
	s_waitcnt vmcnt(14)
	v_mul_f16_sdwa v4, v89, v2 dst_sel:DWORD dst_unused:UNUSED_PAD src0_sel:WORD_1 src1_sel:DWORD
	v_mul_f16_sdwa v5, v89, v6 dst_sel:DWORD dst_unused:UNUSED_PAD src0_sel:WORD_1 src1_sel:DWORD
	v_fma_f16 v4, v89, v6, v4
	v_fma_f16 v2, v89, v2, -v5
	v_pack_b32_f16 v4, v4, v2
	;; [unrolled: 8-line block ×3, first 2 shown]
	v_add_u32_e32 v2, 0x800, v73
	ds_write2_b32 v2, v3, v5 offset0:181 offset1:244
	s_waitcnt vmcnt(11)
	v_lshrrev_b32_e32 v3, 16, v8
	s_waitcnt vmcnt(10)
	v_mul_f16_sdwa v5, v87, v3 dst_sel:DWORD dst_unused:UNUSED_PAD src0_sel:WORD_1 src1_sel:DWORD
	v_mul_f16_sdwa v6, v87, v8 dst_sel:DWORD dst_unused:UNUSED_PAD src0_sel:WORD_1 src1_sel:DWORD
	v_fma_f16 v5, v87, v8, v5
	v_fma_f16 v3, v87, v3, -v6
	v_pack_b32_f16 v3, v5, v3
	ds_write2_b32 v73, v4, v3 offset0:126 offset1:189
	s_waitcnt vmcnt(9)
	v_lshrrev_b32_e32 v3, 16, v9
	s_waitcnt vmcnt(8)
	v_mul_f16_sdwa v5, v86, v9 dst_sel:DWORD dst_unused:UNUSED_PAD src0_sel:WORD_1 src1_sel:DWORD
	v_mul_f16_sdwa v4, v86, v3 dst_sel:DWORD dst_unused:UNUSED_PAD src0_sel:WORD_1 src1_sel:DWORD
	v_fma_f16 v3, v86, v3, -v5
	v_mov_b32_e32 v5, s7
	v_addc_co_u32_e32 v1, vcc, v1, v5, vcc
	global_load_dword v5, v[0:1], off
	v_mov_b32_e32 v6, s1
	v_add_co_u32_e32 v0, vcc, s6, v0
	v_addc_co_u32_e32 v1, vcc, v1, v6, vcc
	global_load_dword v6, v[0:1], off
	v_fma_f16 v4, v86, v9, v4
	v_pack_b32_f16 v7, v4, v3
	v_mov_b32_e32 v3, s7
	v_add_co_u32_e32 v0, vcc, s16, v0
	v_addc_co_u32_e32 v1, vcc, v1, v3, vcc
	global_load_dword v8, v[0:1], off
	v_mov_b32_e32 v3, s1
	v_add_co_u32_e32 v0, vcc, s6, v0
	v_addc_co_u32_e32 v1, vcc, v1, v3, vcc
	global_load_dword v9, v[0:1], off
	;; [unrolled: 4-line block ×4, first 2 shown]
	global_load_dword v81, v73, s[12:13] offset:4032
	v_mov_b32_e32 v3, s7
	v_add_co_u32_e32 v0, vcc, s16, v0
	v_addc_co_u32_e32 v1, vcc, v1, v3, vcc
	global_load_dword v14, v[0:1], off
	v_mov_b32_e32 v3, s1
	v_add_co_u32_e32 v0, vcc, s6, v0
	v_addc_co_u32_e32 v1, vcc, v1, v3, vcc
	v_add_co_u32_e32 v3, vcc, s0, v11
	global_load_dword v15, v[0:1], off
	v_addc_co_u32_e32 v4, vcc, 0, v10, vcc
	global_load_dword v79, v[3:4], off offset:188
	v_mov_b32_e32 v10, s7
	v_add_co_u32_e32 v0, vcc, s16, v0
	v_addc_co_u32_e32 v1, vcc, v1, v10, vcc
	global_load_dword v10, v[0:1], off
	v_mov_b32_e32 v11, s1
	v_add_co_u32_e32 v0, vcc, s6, v0
	v_addc_co_u32_e32 v1, vcc, v1, v11, vcc
	global_load_dword v11, v[0:1], off
	global_load_dword v77, v[3:4], off offset:440
	v_add_co_u32_e32 v0, vcc, s16, v0
	v_addc_co_u32_e32 v1, vcc, v1, v16, vcc
	global_load_dword v16, v[0:1], off
	s_movk_i32 s0, 0xfc
	v_add_co_u32_e32 v20, vcc, s0, v93
	v_add_co_u32_e32 v0, vcc, s6, v0
	v_addc_co_u32_e32 v1, vcc, v1, v17, vcc
	global_load_dword v17, v[0:1], off
	global_load_dword v75, v[3:4], off offset:692
	s_movk_i32 s1, 0x13b
	v_add_co_u32_e32 v22, vcc, s1, v93
	s_movk_i32 s1, 0x17a
	v_add_co_u32_e32 v21, vcc, s1, v93
	s_waitcnt vmcnt(15)
	v_lshrrev_b32_e32 v0, 16, v5
	v_mul_f16_sdwa v1, v85, v0 dst_sel:DWORD dst_unused:UNUSED_PAD src0_sel:WORD_1 src1_sel:DWORD
	v_mul_f16_sdwa v3, v85, v5 dst_sel:DWORD dst_unused:UNUSED_PAD src0_sel:WORD_1 src1_sel:DWORD
	v_fma_f16 v1, v85, v5, v1
	v_fma_f16 v0, v85, v0, -v3
	v_pack_b32_f16 v3, v1, v0
	s_waitcnt vmcnt(14)
	v_lshrrev_b32_e32 v0, 16, v6
	v_mul_f16_sdwa v1, v84, v0 dst_sel:DWORD dst_unused:UNUSED_PAD src0_sel:WORD_1 src1_sel:DWORD
	v_mul_f16_sdwa v4, v84, v6 dst_sel:DWORD dst_unused:UNUSED_PAD src0_sel:WORD_1 src1_sel:DWORD
	v_fma_f16 v1, v84, v6, v1
	v_fma_f16 v0, v84, v0, -v4
	v_pack_b32_f16 v1, v1, v0
	v_add_u32_e32 v0, 0xc00, v73
	ds_write2_b32 v0, v7, v1 offset0:51 offset1:114
	s_waitcnt vmcnt(13)
	v_lshrrev_b32_e32 v1, 16, v8
	v_mul_f16_sdwa v4, v83, v1 dst_sel:DWORD dst_unused:UNUSED_PAD src0_sel:WORD_1 src1_sel:DWORD
	v_mul_f16_sdwa v5, v83, v8 dst_sel:DWORD dst_unused:UNUSED_PAD src0_sel:WORD_1 src1_sel:DWORD
	v_fma_f16 v4, v83, v8, v4
	v_fma_f16 v1, v83, v1, -v5
	v_pack_b32_f16 v4, v4, v1
	v_add_u32_e32 v1, 0x200, v73
	ds_write2_b32 v1, v3, v4 offset0:124 offset1:187
	s_waitcnt vmcnt(12)
	v_lshrrev_b32_e32 v3, 16, v9
	v_mul_f16_sdwa v4, v82, v3 dst_sel:DWORD dst_unused:UNUSED_PAD src0_sel:WORD_1 src1_sel:DWORD
	v_mul_f16_sdwa v5, v82, v9 dst_sel:DWORD dst_unused:UNUSED_PAD src0_sel:WORD_1 src1_sel:DWORD
	v_fma_f16 v4, v82, v9, v4
	v_fma_f16 v3, v82, v3, -v5
	v_pack_b32_f16 v3, v4, v3
	s_waitcnt vmcnt(11)
	v_lshrrev_b32_e32 v4, 16, v12
	v_mul_f16_sdwa v5, v80, v4 dst_sel:DWORD dst_unused:UNUSED_PAD src0_sel:WORD_1 src1_sel:DWORD
	v_mul_f16_sdwa v6, v80, v12 dst_sel:DWORD dst_unused:UNUSED_PAD src0_sel:WORD_1 src1_sel:DWORD
	v_fma_f16 v5, v80, v12, v5
	v_fma_f16 v4, v80, v4, -v6
	v_pack_b32_f16 v4, v5, v4
	s_waitcnt vmcnt(10)
	v_lshrrev_b32_e32 v5, 16, v13
	s_waitcnt vmcnt(9)
	v_mul_f16_sdwa v6, v81, v5 dst_sel:DWORD dst_unused:UNUSED_PAD src0_sel:WORD_1 src1_sel:DWORD
	v_mul_f16_sdwa v7, v81, v13 dst_sel:DWORD dst_unused:UNUSED_PAD src0_sel:WORD_1 src1_sel:DWORD
	v_fma_f16 v6, v81, v13, v6
	v_fma_f16 v5, v81, v5, -v7
	v_pack_b32_f16 v5, v6, v5
	ds_write2_b32 v0, v3, v5 offset0:177 offset1:240
	s_waitcnt vmcnt(8)
	v_lshrrev_b32_e32 v3, 16, v14
	v_mul_f16_sdwa v5, v78, v3 dst_sel:DWORD dst_unused:UNUSED_PAD src0_sel:WORD_1 src1_sel:DWORD
	v_mul_f16_sdwa v6, v78, v14 dst_sel:DWORD dst_unused:UNUSED_PAD src0_sel:WORD_1 src1_sel:DWORD
	v_fma_f16 v5, v78, v14, v5
	v_fma_f16 v3, v78, v3, -v6
	v_pack_b32_f16 v5, v5, v3
	v_add_u32_e32 v3, 0x400, v73
	ds_write2_b32 v3, v4, v5 offset0:122 offset1:185
	s_waitcnt vmcnt(7)
	v_lshrrev_b32_e32 v4, 16, v15
	s_waitcnt vmcnt(6)
	v_mul_f16_sdwa v5, v79, v4 dst_sel:DWORD dst_unused:UNUSED_PAD src0_sel:WORD_1 src1_sel:DWORD
	v_mul_f16_sdwa v6, v79, v15 dst_sel:DWORD dst_unused:UNUSED_PAD src0_sel:WORD_1 src1_sel:DWORD
	v_fma_f16 v5, v79, v15, v5
	v_fma_f16 v4, v79, v4, -v6
	v_pack_b32_f16 v5, v5, v4
	s_waitcnt vmcnt(5)
	v_lshrrev_b32_e32 v4, 16, v10
	v_mul_f16_sdwa v6, v76, v4 dst_sel:DWORD dst_unused:UNUSED_PAD src0_sel:WORD_1 src1_sel:DWORD
	v_mul_f16_sdwa v7, v76, v10 dst_sel:DWORD dst_unused:UNUSED_PAD src0_sel:WORD_1 src1_sel:DWORD
	v_fma_f16 v6, v76, v10, v6
	v_fma_f16 v4, v76, v4, -v7
	v_pack_b32_f16 v6, v6, v4
	s_waitcnt vmcnt(4)
	v_lshrrev_b32_e32 v4, 16, v11
	s_waitcnt vmcnt(3)
	v_mul_f16_sdwa v7, v77, v4 dst_sel:DWORD dst_unused:UNUSED_PAD src0_sel:WORD_1 src1_sel:DWORD
	v_mul_f16_sdwa v8, v77, v11 dst_sel:DWORD dst_unused:UNUSED_PAD src0_sel:WORD_1 src1_sel:DWORD
	v_fma_f16 v7, v77, v11, v7
	v_fma_f16 v4, v77, v4, -v8
	v_pack_b32_f16 v7, v7, v4
	v_add_u32_e32 v4, 0x1000, v73
	ds_write2_b32 v4, v5, v7 offset0:47 offset1:110
	s_waitcnt vmcnt(2)
	v_lshrrev_b32_e32 v5, 16, v16
	v_mul_f16_sdwa v7, v74, v5 dst_sel:DWORD dst_unused:UNUSED_PAD src0_sel:WORD_1 src1_sel:DWORD
	v_mul_f16_sdwa v8, v74, v16 dst_sel:DWORD dst_unused:UNUSED_PAD src0_sel:WORD_1 src1_sel:DWORD
	v_fma_f16 v7, v74, v16, v7
	v_fma_f16 v5, v74, v5, -v8
	v_pack_b32_f16 v5, v7, v5
	ds_write2_b32 v27, v6, v5 offset0:120 offset1:183
	s_waitcnt vmcnt(1)
	v_lshrrev_b32_e32 v5, 16, v17
	s_waitcnt vmcnt(0)
	v_mul_f16_sdwa v6, v75, v5 dst_sel:DWORD dst_unused:UNUSED_PAD src0_sel:WORD_1 src1_sel:DWORD
	v_mul_f16_sdwa v7, v75, v17 dst_sel:DWORD dst_unused:UNUSED_PAD src0_sel:WORD_1 src1_sel:DWORD
	v_fma_f16 v6, v75, v17, v6
	v_fma_f16 v5, v75, v5, -v7
	v_pack_b32_f16 v5, v6, v5
	ds_write_b32 v73, v5 offset:4788
	s_waitcnt lgkmcnt(0)
	; wave barrier
	s_waitcnt lgkmcnt(0)
	ds_read2_b32 v[5:6], v73 offset1:63
	ds_read2_b32 v[7:8], v2 offset0:118 offset1:181
	ds_read2_b32 v[11:12], v73 offset0:126 offset1:189
	;; [unrolled: 1-line block ×6, first 2 shown]
	s_waitcnt lgkmcnt(5)
	v_pk_add_f16 v10, v5, v7 neg_lo:[0,1] neg_hi:[0,1]
	v_pk_add_f16 v7, v6, v8 neg_lo:[0,1] neg_hi:[0,1]
	s_waitcnt lgkmcnt(3)
	v_pk_add_f16 v26, v11, v13 neg_lo:[0,1] neg_hi:[0,1]
	s_waitcnt lgkmcnt(1)
	v_pk_add_f16 v30, v15, v23 neg_lo:[0,1] neg_hi:[0,1]
	v_pk_add_f16 v13, v12, v14 neg_lo:[0,1] neg_hi:[0,1]
	v_pk_fma_f16 v29, v15, 2.0, v30 op_sel_hi:[1,0,1] neg_lo:[0,0,1] neg_hi:[0,0,1]
	ds_read2_b32 v[14:15], v3 offset0:122 offset1:185
	v_pk_add_f16 v17, v16, v24 neg_lo:[0,1] neg_hi:[0,1]
	ds_read2_b32 v[23:24], v27 offset0:120 offset1:183
	ds_read2_b32 v[33:34], v4 offset0:110 offset1:173
	v_pk_fma_f16 v9, v5, 2.0, v10 op_sel_hi:[1,0,1] neg_lo:[0,0,1] neg_hi:[0,0,1]
	v_pk_fma_f16 v6, v6, 2.0, v7 op_sel_hi:[1,0,1] neg_lo:[0,0,1] neg_hi:[0,0,1]
	s_waitcnt lgkmcnt(2)
	v_pk_add_f16 v32, v15, v32 neg_lo:[0,1] neg_hi:[0,1]
	v_pk_fma_f16 v25, v11, 2.0, v26 op_sel_hi:[1,0,1] neg_lo:[0,0,1] neg_hi:[0,0,1]
	v_pk_fma_f16 v12, v12, 2.0, v13 op_sel_hi:[1,0,1] neg_lo:[0,0,1] neg_hi:[0,0,1]
	v_pk_add_f16 v36, v14, v31 neg_lo:[0,1] neg_hi:[0,1]
	v_pk_fma_f16 v31, v15, 2.0, v32 op_sel_hi:[1,0,1] neg_lo:[0,0,1] neg_hi:[0,0,1]
	s_waitcnt lgkmcnt(0)
	v_pk_add_f16 v15, v23, v33 neg_lo:[0,1] neg_hi:[0,1]
	v_pk_add_f16 v34, v24, v34 neg_lo:[0,1] neg_hi:[0,1]
	v_lshlrev_b32_e32 v98, 3, v20
	v_pk_fma_f16 v16, v16, 2.0, v17 op_sel_hi:[1,0,1] neg_lo:[0,0,1] neg_hi:[0,0,1]
	v_pk_fma_f16 v35, v14, 2.0, v36 op_sel_hi:[1,0,1] neg_lo:[0,0,1] neg_hi:[0,0,1]
	;; [unrolled: 1-line block ×4, first 2 shown]
	s_waitcnt lgkmcnt(0)
	; wave barrier
	ds_write_b64 v96, v[9:10]
	ds_write_b64 v102, v[6:7]
	;; [unrolled: 1-line block ×3, first 2 shown]
	v_lshlrev_b32_e32 v100, 3, v22
	v_lshlrev_b32_e32 v97, 3, v21
	ds_write_b64 v101, v[12:13]
	v_lshlrev_b32_e32 v5, 2, v39
	ds_write_b64 v98, v[29:30]
	ds_write_b64 v100, v[16:17]
	;; [unrolled: 1-line block ×3, first 2 shown]
	ds_write_b64 v96, v[31:32] offset:3528
	ds_write_b64 v5, v[14:15] offset:4032
	;; [unrolled: 1-line block ×3, first 2 shown]
	v_and_b32_e32 v17, 1, v93
	v_lshlrev_b32_e32 v5, 2, v17
	s_waitcnt lgkmcnt(0)
	; wave barrier
	s_waitcnt lgkmcnt(0)
	global_load_dword v95, v5, s[14:15]
	v_and_b32_e32 v36, 1, v22
	v_and_b32_e32 v33, 1, v19
	;; [unrolled: 1-line block ×4, first 2 shown]
	v_lshlrev_b32_e32 v8, 2, v36
	v_lshlrev_b32_e32 v5, 2, v33
	;; [unrolled: 1-line block ×4, first 2 shown]
	global_load_ushort v103, v8, s[14:15]
	global_load_ushort v104, v8, s[14:15] offset:2
	global_load_ushort v105, v6, s[14:15] offset:2
	global_load_ushort v109, v7, s[14:15]
	global_load_dword v107, v6, s[14:15]
	global_load_ushort v114, v5, s[14:15]
	global_load_ushort v112, v7, s[14:15] offset:2
	ds_read2_b32 v[5:6], v2 offset0:118 offset1:181
	ds_read2_b32 v[7:8], v73 offset1:63
	s_movk_i32 s1, 0x7c
	s_waitcnt lgkmcnt(1)
	v_lshrrev_b32_e32 v9, 16, v5
	s_waitcnt vmcnt(7)
	v_mul_f16_sdwa v10, v5, v95 dst_sel:DWORD dst_unused:UNUSED_PAD src0_sel:DWORD src1_sel:WORD_1
	v_fma_f16 v10, v9, v95, v10
	v_mul_f16_sdwa v9, v9, v95 dst_sel:DWORD dst_unused:UNUSED_PAD src0_sel:DWORD src1_sel:WORD_1
	v_fma_f16 v5, v5, v95, -v9
	s_waitcnt lgkmcnt(0)
	v_lshrrev_b32_e32 v9, 16, v7
	v_sub_f16_e32 v5, v7, v5
	v_sub_f16_e32 v10, v9, v10
	v_fma_f16 v9, v9, 2.0, -v10
	v_fma_f16 v7, v7, 2.0, -v5
	v_pack_b32_f16 v7, v7, v9
	v_lshlrev_b32_e32 v9, 2, v40
	global_load_ushort v113, v9, s[14:15]
	global_load_ushort v115, v9, s[14:15] offset:2
	v_pack_b32_f16 v5, v5, v10
	ds_read2_b32 v[9:10], v37 offset0:116 offset1:179
	ds_read2_b32 v[11:12], v27 offset0:120 offset1:183
	;; [unrolled: 1-line block ×8, first 2 shown]
	v_and_or_b32 v27, v39, s1, v17
	v_lshlrev_b32_e32 v106, 2, v27
	s_waitcnt lgkmcnt(0)
	; wave barrier
	s_waitcnt lgkmcnt(0)
	ds_write2_b32 v106, v7, v5 offset1:2
	v_lshrrev_b32_e32 v5, 16, v6
	s_waitcnt vmcnt(4)
	v_mul_f16_sdwa v7, v5, v107 dst_sel:DWORD dst_unused:UNUSED_PAD src0_sel:DWORD src1_sel:WORD_1
	s_waitcnt vmcnt(3)
	v_fma_f16 v7, v6, v114, -v7
	v_mul_f16_sdwa v6, v6, v107 dst_sel:DWORD dst_unused:UNUSED_PAD src0_sel:DWORD src1_sel:WORD_1
	v_fma_f16 v5, v5, v114, v6
	v_sub_f16_e32 v6, v8, v7
	v_lshrrev_b32_e32 v7, 16, v8
	v_lshlrev_b32_e32 v27, 1, v19
	v_sub_f16_e32 v5, v7, v5
	v_fma_f16 v8, v8, 2.0, -v6
	v_and_or_b32 v27, v27, s0, v33
	v_fma_f16 v7, v7, 2.0, -v5
	v_pack_b32_f16 v7, v8, v7
	v_pack_b32_f16 v5, v6, v5
	v_lshlrev_b32_e32 v108, 2, v27
	ds_write2_b32 v108, v7, v5 offset1:2
	v_lshrrev_b32_e32 v5, 16, v9
	v_mul_f16_sdwa v6, v9, v95 dst_sel:DWORD dst_unused:UNUSED_PAD src0_sel:DWORD src1_sel:WORD_1
	v_fma_f16 v6, v5, v95, v6
	v_mul_f16_sdwa v5, v5, v95 dst_sel:DWORD dst_unused:UNUSED_PAD src0_sel:DWORD src1_sel:WORD_1
	v_fma_f16 v5, v9, v95, -v5
	v_lshrrev_b32_e32 v7, 16, v13
	v_sub_f16_e32 v5, v13, v5
	v_sub_f16_e32 v6, v7, v6
	v_fma_f16 v7, v7, 2.0, -v6
	v_fma_f16 v8, v13, 2.0, -v5
	v_pack_b32_f16 v5, v5, v6
	s_movk_i32 s0, 0x1fc
	v_lshlrev_b32_e32 v6, 1, v47
	v_and_or_b32 v6, v6, s0, v17
	v_pack_b32_f16 v7, v8, v7
	v_lshlrev_b32_e32 v111, 2, v6
	ds_write2_b32 v111, v7, v5 offset1:2
	v_lshrrev_b32_e32 v5, 16, v10
	s_waitcnt vmcnt(2)
	v_mul_f16_e32 v6, v5, v112
	v_mul_f16_e32 v7, v10, v112
	v_fma_f16 v6, v10, v109, -v6
	v_fma_f16 v5, v5, v109, v7
	v_lshrrev_b32_e32 v7, 16, v14
	v_sub_f16_e32 v6, v14, v6
	v_lshlrev_b32_e32 v9, 1, v18
	v_sub_f16_e32 v5, v7, v5
	v_fma_f16 v8, v14, 2.0, -v6
	v_and_or_b32 v9, v9, s0, v35
	v_fma_f16 v7, v7, 2.0, -v5
	v_pack_b32_f16 v7, v8, v7
	v_pack_b32_f16 v5, v6, v5
	v_lshlrev_b32_e32 v116, 2, v9
	ds_write2_b32 v116, v7, v5 offset1:2
	v_lshrrev_b32_e32 v5, 16, v23
	v_mul_f16_sdwa v6, v23, v95 dst_sel:DWORD dst_unused:UNUSED_PAD src0_sel:DWORD src1_sel:WORD_1
	v_fma_f16 v6, v5, v95, v6
	v_mul_f16_sdwa v5, v5, v95 dst_sel:DWORD dst_unused:UNUSED_PAD src0_sel:DWORD src1_sel:WORD_1
	v_fma_f16 v5, v23, v95, -v5
	v_lshrrev_b32_e32 v7, 16, v15
	v_sub_f16_e32 v5, v15, v5
	v_sub_f16_e32 v6, v7, v6
	v_fma_f16 v7, v7, 2.0, -v6
	v_fma_f16 v8, v15, 2.0, -v5
	v_pack_b32_f16 v5, v5, v6
	s_movk_i32 s0, 0x3fc
	v_lshlrev_b32_e32 v6, 1, v20
	v_and_or_b32 v6, v6, s0, v17
	v_pack_b32_f16 v7, v8, v7
	v_lshlrev_b32_e32 v117, 2, v6
	ds_write2_b32 v117, v7, v5 offset1:2
	v_lshrrev_b32_e32 v5, 16, v24
	v_mul_f16_e32 v6, v5, v104
	v_mul_f16_e32 v7, v24, v104
	v_fma_f16 v6, v24, v103, -v6
	v_fma_f16 v5, v5, v103, v7
	v_lshrrev_b32_e32 v7, 16, v16
	v_sub_f16_e32 v6, v16, v6
	s_movk_i32 s1, 0x2fc
	v_lshlrev_b32_e32 v9, 1, v22
	v_sub_f16_e32 v5, v7, v5
	v_fma_f16 v8, v16, 2.0, -v6
	v_and_or_b32 v9, v9, s1, v36
	v_fma_f16 v7, v7, 2.0, -v5
	v_pack_b32_f16 v7, v8, v7
	v_pack_b32_f16 v5, v6, v5
	v_lshlrev_b32_e32 v118, 2, v9
	ds_write2_b32 v118, v7, v5 offset1:2
	v_lshrrev_b32_e32 v5, 16, v29
	v_mul_f16_sdwa v6, v29, v95 dst_sel:DWORD dst_unused:UNUSED_PAD src0_sel:DWORD src1_sel:WORD_1
	v_fma_f16 v6, v5, v95, v6
	v_mul_f16_sdwa v5, v5, v95 dst_sel:DWORD dst_unused:UNUSED_PAD src0_sel:DWORD src1_sel:WORD_1
	v_fma_f16 v5, v29, v95, -v5
	v_lshrrev_b32_e32 v7, 16, v25
	v_sub_f16_e32 v5, v25, v5
	v_sub_f16_e32 v6, v7, v6
	v_fma_f16 v7, v7, 2.0, -v6
	v_fma_f16 v8, v25, 2.0, -v5
	v_pack_b32_f16 v5, v5, v6
	v_lshlrev_b32_e32 v6, 1, v21
	v_and_or_b32 v6, v6, s0, v17
	v_pack_b32_f16 v7, v8, v7
	v_lshlrev_b32_e32 v119, 2, v6
	ds_write2_b32 v119, v7, v5 offset1:2
	v_lshrrev_b32_e32 v5, 16, v30
	s_waitcnt vmcnt(0)
	v_mul_f16_e32 v6, v5, v115
	v_mul_f16_e32 v7, v30, v115
	v_fma_f16 v6, v30, v113, -v6
	v_fma_f16 v5, v5, v113, v7
	v_lshrrev_b32_e32 v7, 16, v26
	v_sub_f16_e32 v6, v26, v6
	v_lshlrev_b32_e32 v9, 1, v154
	v_sub_f16_e32 v5, v7, v5
	v_fma_f16 v8, v26, 2.0, -v6
	v_and_or_b32 v9, v9, s0, v40
	v_fma_f16 v7, v7, 2.0, -v5
	v_pack_b32_f16 v7, v8, v7
	v_pack_b32_f16 v5, v6, v5
	v_lshlrev_b32_e32 v120, 2, v9
	ds_write2_b32 v120, v7, v5 offset1:2
	v_lshrrev_b32_e32 v5, 16, v31
	v_mul_f16_sdwa v6, v31, v95 dst_sel:DWORD dst_unused:UNUSED_PAD src0_sel:DWORD src1_sel:WORD_1
	v_fma_f16 v6, v5, v95, v6
	v_mul_f16_sdwa v5, v5, v95 dst_sel:DWORD dst_unused:UNUSED_PAD src0_sel:DWORD src1_sel:WORD_1
	v_fma_f16 v5, v31, v95, -v5
	v_lshrrev_b32_e32 v7, 16, v11
	v_sub_f16_e32 v5, v11, v5
	v_sub_f16_e32 v6, v7, v6
	s_movk_i32 s0, 0x7fc
	v_fma_f16 v7, v7, 2.0, -v6
	v_fma_f16 v8, v11, 2.0, -v5
	v_pack_b32_f16 v5, v5, v6
	v_and_or_b32 v6, v155, s0, v17
	v_pack_b32_f16 v7, v8, v7
	v_lshlrev_b32_e32 v121, 2, v6
	ds_write2_b32 v121, v7, v5 offset1:2
	v_lshrrev_b32_e32 v5, 16, v32
	v_mul_f16_e32 v6, v5, v105
	v_fma_f16 v6, v32, v107, -v6
	v_mul_f16_e32 v7, v32, v105
	v_fma_f16 v5, v5, v107, v7
	v_sub_f16_e32 v27, v12, v6
	v_lshrrev_b32_e32 v6, 16, v12
	s_movk_i32 s0, 0x4fc
	v_lshlrev_b32_e32 v7, 1, v153
	v_sub_f16_e32 v33, v6, v5
	v_fma_f16 v23, v12, 2.0, -v27
	v_and_or_b32 v7, v7, s0, v34
	v_fma_f16 v25, v6, 2.0, -v33
	v_lshlrev_b32_e32 v122, 2, v7
	v_pack_b32_f16 v5, v23, v25
	v_pack_b32_f16 v6, v27, v33
	ds_write2_b32 v122, v5, v6 offset1:2
	s_waitcnt lgkmcnt(0)
	; wave barrier
	s_waitcnt lgkmcnt(0)
	ds_read2_b32 v[16:17], v3 offset0:164 offset1:227
	ds_read2_b32 v[14:15], v0 offset0:72 offset1:135
	;; [unrolled: 1-line block ×7, first 2 shown]
	ds_read2_b32 v[4:5], v73 offset1:63
	ds_read2_b32 v[2:3], v73 offset0:126 offset1:189
	v_cmp_gt_u16_e64 s[0:1], 42, v93
                                        ; implicit-def: $vgpr24
                                        ; implicit-def: $vgpr26
	s_and_saveexec_b64 s[2:3], s[0:1]
	s_cbranch_execz .LBB0_3
; %bb.2:
	ds_read_b32 v23, v73 offset:1512
	ds_read_b32 v27, v73 offset:3192
	;; [unrolled: 1-line block ×3, first 2 shown]
	s_waitcnt lgkmcnt(2)
	v_lshrrev_b32_e32 v25, 16, v23
	s_waitcnt lgkmcnt(1)
	v_lshrrev_b32_e32 v33, 16, v27
	;; [unrolled: 2-line block ×3, first 2 shown]
.LBB0_3:
	s_or_b64 exec, exec, s[2:3]
	v_and_b32_e32 v34, 3, v93
	v_lshlrev_b32_e32 v29, 3, v34
	global_load_dwordx2 v[29:30], v29, s[14:15] offset:8
	v_and_b32_e32 v35, 3, v22
	v_and_b32_e32 v110, 3, v21
	;; [unrolled: 1-line block ×4, first 2 shown]
	v_lshlrev_b32_e32 v36, 3, v35
	global_load_dword v123, v36, s[14:15] offset:8
	v_lshlrev_b32_e32 v37, 3, v110
	v_lshlrev_b32_e32 v31, 3, v38
	;; [unrolled: 1-line block ×3, first 2 shown]
	global_load_dword v126, v36, s[14:15] offset:10
	global_load_dword v124, v36, s[14:15] offset:12
	;; [unrolled: 1-line block ×5, first 2 shown]
	global_load_ushort v130, v40, s[14:15] offset:8
	v_and_b32_e32 v40, 3, v47
	global_load_dwordx2 v[31:32], v31, s[14:15] offset:8
	v_lshlrev_b32_e32 v41, 3, v40
	global_load_ushort v129, v41, s[14:15] offset:8
	global_load_ushort v131, v36, s[14:15] offset:14
	;; [unrolled: 1-line block ×3, first 2 shown]
	s_waitcnt lgkmcnt(8)
	v_lshrrev_b32_e32 v37, 16, v16
	s_waitcnt lgkmcnt(3)
	v_lshrrev_b32_e32 v56, 16, v9
	;; [unrolled: 2-line block ×3, first 2 shown]
	v_lshrrev_b32_e32 v41, 16, v14
	v_lshrrev_b32_e32 v43, 16, v17
	s_waitcnt lgkmcnt(1)
	v_lshrrev_b32_e32 v36, 16, v4
	s_movk_i32 s2, 0x3aee
	s_mov_b32 s3, 0xbaee
	v_lshrrev_b32_e32 v44, 16, v15
	v_lshrrev_b32_e32 v42, 16, v5
	;; [unrolled: 1-line block ×4, first 2 shown]
	s_waitcnt lgkmcnt(0)
	v_lshrrev_b32_e32 v45, 16, v2
	v_lshrrev_b32_e32 v50, 16, v13
	;; [unrolled: 1-line block ×8, first 2 shown]
	s_waitcnt lgkmcnt(0)
	; wave barrier
	v_lshrrev_b32_e32 v140, 2, v21
	s_waitcnt vmcnt(11)
	v_mul_f16_sdwa v58, v37, v29 dst_sel:DWORD dst_unused:UNUSED_PAD src0_sel:DWORD src1_sel:WORD_1
	v_mul_f16_sdwa v59, v16, v29 dst_sel:DWORD dst_unused:UNUSED_PAD src0_sel:DWORD src1_sel:WORD_1
	v_fma_f16 v16, v16, v29, -v58
	v_mul_f16_sdwa v60, v41, v30 dst_sel:DWORD dst_unused:UNUSED_PAD src0_sel:DWORD src1_sel:WORD_1
	v_fma_f16 v37, v37, v29, v59
	v_mul_f16_sdwa v61, v14, v30 dst_sel:DWORD dst_unused:UNUSED_PAD src0_sel:DWORD src1_sel:WORD_1
	v_fma_f16 v14, v14, v30, -v60
	v_fma_f16 v41, v41, v30, v61
	s_waitcnt vmcnt(10)
	v_mul_f16_sdwa v62, v43, v123 dst_sel:DWORD dst_unused:UNUSED_PAD src0_sel:DWORD src1_sel:WORD_1
	s_waitcnt vmcnt(9)
	v_mul_f16_e32 v58, v56, v126
	v_fma_f16 v58, v9, v123, -v58
	v_mul_f16_e32 v9, v9, v126
	v_fma_f16 v9, v56, v123, v9
	v_mul_f16_sdwa v63, v17, v123 dst_sel:DWORD dst_unused:UNUSED_PAD src0_sel:DWORD src1_sel:WORD_1
	s_waitcnt vmcnt(4)
	v_fma_f16 v17, v17, v130, -v62
	v_fma_f16 v43, v43, v130, v63
	s_waitcnt vmcnt(1)
	v_mul_f16_e32 v56, v57, v131
	v_fma_f16 v56, v7, v124, -v56
	v_mul_f16_e32 v7, v7, v131
	v_fma_f16 v7, v57, v124, v7
	v_mul_f16_e32 v57, v33, v128
	v_fma_f16 v57, v27, v125, -v57
	v_mul_f16_e32 v27, v27, v128
	v_fma_f16 v33, v33, v125, v27
	s_waitcnt vmcnt(0)
	v_mul_f16_e32 v27, v26, v132
	v_fma_f16 v59, v24, v127, -v27
	v_mul_f16_e32 v24, v24, v132
	v_fma_f16 v60, v26, v127, v24
	v_add_f16_e32 v24, v4, v16
	v_add_f16_e32 v61, v24, v14
	;; [unrolled: 1-line block ×3, first 2 shown]
	v_fma_f16 v4, v24, -0.5, v4
	v_sub_f16_e32 v24, v37, v41
	v_fma_f16 v62, v24, s2, v4
	v_fma_f16 v4, v24, s3, v4
	v_add_f16_e32 v24, v36, v37
	v_add_f16_e32 v63, v24, v41
	v_add_f16_e32 v24, v37, v41
	v_lshrrev_b32_e32 v134, 16, v126
	v_mul_f16_sdwa v64, v44, v124 dst_sel:DWORD dst_unused:UNUSED_PAD src0_sel:DWORD src1_sel:WORD_1
	v_fma_f16 v24, v24, -0.5, v36
	v_sub_f16_e32 v14, v16, v14
	v_mul_f16_sdwa v65, v15, v124 dst_sel:DWORD dst_unused:UNUSED_PAD src0_sel:DWORD src1_sel:WORD_1
	v_fma_f16 v15, v15, v134, -v64
	v_fma_f16 v16, v14, s3, v24
	v_fma_f16 v14, v14, s2, v24
	v_add_f16_e32 v24, v5, v17
	v_fma_f16 v44, v44, v134, v65
	v_add_f16_e32 v36, v24, v15
	v_add_f16_e32 v24, v17, v15
	v_fma_f16 v5, v24, -0.5, v5
	v_sub_f16_e32 v24, v43, v44
	v_fma_f16 v37, v24, s2, v5
	v_fma_f16 v5, v24, s3, v5
	v_add_f16_e32 v24, v42, v43
	v_mul_f16_sdwa v66, v46, v125 dst_sel:DWORD dst_unused:UNUSED_PAD src0_sel:DWORD src1_sel:WORD_1
	v_add_f16_e32 v41, v24, v44
	v_add_f16_e32 v24, v43, v44
	v_mul_f16_sdwa v67, v12, v125 dst_sel:DWORD dst_unused:UNUSED_PAD src0_sel:DWORD src1_sel:WORD_1
	v_lshrrev_b32_e32 v133, 16, v128
	v_mul_f16_sdwa v68, v48, v127 dst_sel:DWORD dst_unused:UNUSED_PAD src0_sel:DWORD src1_sel:WORD_1
	v_fma_f16 v12, v12, v129, -v66
	v_fma_f16 v24, v24, -0.5, v42
	v_sub_f16_e32 v15, v17, v15
	v_mul_f16_sdwa v69, v10, v127 dst_sel:DWORD dst_unused:UNUSED_PAD src0_sel:DWORD src1_sel:WORD_1
	v_fma_f16 v10, v10, v133, -v68
	v_fma_f16 v17, v15, s3, v24
	v_fma_f16 v15, v15, s2, v24
	v_add_f16_e32 v24, v2, v12
	v_fma_f16 v46, v46, v129, v67
	v_fma_f16 v48, v48, v133, v69
	v_add_f16_e32 v42, v24, v10
	v_add_f16_e32 v24, v12, v10
	v_fma_f16 v2, v24, -0.5, v2
	v_sub_f16_e32 v24, v46, v48
	v_fma_f16 v43, v24, s2, v2
	v_fma_f16 v2, v24, s3, v2
	v_add_f16_e32 v24, v45, v46
	v_mul_f16_sdwa v70, v50, v31 dst_sel:DWORD dst_unused:UNUSED_PAD src0_sel:DWORD src1_sel:WORD_1
	v_add_f16_e32 v44, v24, v48
	v_add_f16_e32 v24, v46, v48
	v_mul_f16_sdwa v71, v13, v31 dst_sel:DWORD dst_unused:UNUSED_PAD src0_sel:DWORD src1_sel:WORD_1
	v_mul_f16_sdwa v72, v51, v32 dst_sel:DWORD dst_unused:UNUSED_PAD src0_sel:DWORD src1_sel:WORD_1
	v_fma_f16 v13, v13, v31, -v70
	v_fma_f16 v24, v24, -0.5, v45
	v_sub_f16_e32 v10, v12, v10
	v_mul_f16_sdwa v135, v11, v32 dst_sel:DWORD dst_unused:UNUSED_PAD src0_sel:DWORD src1_sel:WORD_1
	v_fma_f16 v11, v11, v32, -v72
	v_fma_f16 v12, v10, s3, v24
	v_fma_f16 v10, v10, s2, v24
	v_add_f16_e32 v24, v3, v13
	v_fma_f16 v50, v50, v31, v71
	v_fma_f16 v51, v51, v32, v135
	v_add_f16_e32 v45, v24, v11
	v_add_f16_e32 v24, v13, v11
	v_fma_f16 v3, v24, -0.5, v3
	v_sub_f16_e32 v24, v50, v51
	v_fma_f16 v46, v24, s2, v3
	v_fma_f16 v3, v24, s3, v3
	v_add_f16_e32 v24, v49, v50
	v_mul_f16_sdwa v136, v53, v29 dst_sel:DWORD dst_unused:UNUSED_PAD src0_sel:DWORD src1_sel:WORD_1
	v_add_f16_e32 v64, v24, v51
	v_add_f16_e32 v24, v50, v51
	v_mul_f16_sdwa v137, v8, v29 dst_sel:DWORD dst_unused:UNUSED_PAD src0_sel:DWORD src1_sel:WORD_1
	v_mul_f16_sdwa v138, v54, v30 dst_sel:DWORD dst_unused:UNUSED_PAD src0_sel:DWORD src1_sel:WORD_1
	v_fma_f16 v8, v8, v29, -v136
	v_fma_f16 v24, v24, -0.5, v49
	v_sub_f16_e32 v11, v13, v11
	v_mul_f16_sdwa v139, v6, v30 dst_sel:DWORD dst_unused:UNUSED_PAD src0_sel:DWORD src1_sel:WORD_1
	v_fma_f16 v6, v6, v30, -v138
	v_fma_f16 v13, v11, s3, v24
	v_fma_f16 v11, v11, s2, v24
	v_add_f16_e32 v24, v0, v8
	v_fma_f16 v53, v53, v29, v137
	v_fma_f16 v54, v54, v30, v139
	v_add_f16_e32 v49, v24, v6
	v_add_f16_e32 v24, v8, v6
	v_fma_f16 v0, v24, -0.5, v0
	v_sub_f16_e32 v24, v53, v54
	v_fma_f16 v50, v24, s2, v0
	v_fma_f16 v0, v24, s3, v0
	v_add_f16_e32 v24, v52, v53
	v_add_f16_e32 v51, v24, v54
	v_add_f16_e32 v24, v53, v54
	v_fma_f16 v24, v24, -0.5, v52
	v_sub_f16_e32 v6, v8, v6
	v_fma_f16 v8, v6, s3, v24
	v_fma_f16 v6, v6, s2, v24
	v_add_f16_e32 v24, v1, v58
	;; [unrolled: 7-line block ×5, first 2 shown]
	v_add_f16_e32 v23, v9, v60
	v_add_f16_e32 v9, v33, v60
	v_fma_f16 v9, v9, -0.5, v25
	v_sub_f16_e32 v25, v57, v59
	v_fma_f16 v48, v25, s3, v9
	v_fma_f16 v25, v25, s2, v9
	v_lshrrev_b32_e32 v9, 2, v93
	v_mul_u32_u24_e32 v9, 12, v9
	v_or_b32_e32 v9, v9, v34
	v_lshlrev_b32_e32 v135, 2, v9
	v_pack_b32_f16 v4, v4, v14
	ds_write_b32 v135, v4 offset:32
	v_lshrrev_b32_e32 v4, 2, v19
	v_mul_u32_u24_e32 v4, 12, v4
	v_pack_b32_f16 v9, v61, v63
	v_pack_b32_f16 v16, v62, v16
	v_or_b32_e32 v4, v4, v39
	ds_write2_b32 v135, v9, v16 offset1:4
	v_lshlrev_b32_e32 v136, 2, v4
	v_pack_b32_f16 v4, v36, v41
	v_pack_b32_f16 v9, v37, v17
	ds_write2_b32 v136, v4, v9 offset1:4
	v_pack_b32_f16 v4, v5, v15
	ds_write_b32 v136, v4 offset:32
	v_lshrrev_b32_e32 v4, 2, v47
	v_mul_u32_u24_e32 v4, 12, v4
	v_or_b32_e32 v4, v4, v40
	v_lshlrev_b32_e32 v137, 2, v4
	v_pack_b32_f16 v2, v2, v10
	ds_write_b32 v137, v2 offset:32
	v_lshrrev_b32_e32 v2, 2, v18
	v_mul_u32_u24_e32 v2, 12, v2
	v_pack_b32_f16 v4, v42, v44
	v_pack_b32_f16 v5, v43, v12
	v_or_b32_e32 v2, v2, v38
	ds_write2_b32 v137, v4, v5 offset1:4
	v_lshlrev_b32_e32 v138, 2, v2
	v_pack_b32_f16 v2, v45, v64
	v_pack_b32_f16 v4, v46, v13
	ds_write2_b32 v138, v2, v4 offset1:4
	v_pack_b32_f16 v2, v3, v11
	ds_write_b32 v138, v2 offset:32
	;; [unrolled: 18-line block ×3, first 2 shown]
	s_and_saveexec_b64 s[2:3], s[0:1]
	s_cbranch_execz .LBB0_5
; %bb.4:
	v_mul_u32_u24_e32 v0, 12, v140
	v_or_b32_e32 v0, v0, v110
	s_mov_b32 s6, 0x5040100
	v_lshlrev_b32_e32 v0, 2, v0
	v_perm_b32 v1, v23, v24, s6
	v_perm_b32 v2, v48, v26, s6
	ds_write2_b32 v0, v1, v2 offset1:4
	v_perm_b32 v1, v25, v27, s6
	ds_write_b32 v0, v1 offset:32
.LBB0_5:
	s_or_b64 exec, exec, s[2:3]
	v_add_u32_e32 v0, 0x400, v73
	s_waitcnt lgkmcnt(0)
	; wave barrier
	s_waitcnt lgkmcnt(0)
	ds_read2_b32 v[14:15], v0 offset0:164 offset1:227
	v_add_u32_e32 v0, 0xc00, v73
	ds_read2_b32 v[4:5], v73 offset1:63
	ds_read2_b32 v[16:17], v0 offset0:72 offset1:135
	ds_read2_b32 v[2:3], v73 offset0:126 offset1:189
	v_add_u32_e32 v0, 0xe00, v73
	v_add_u32_e32 v6, 0x800, v73
	ds_read2_b32 v[12:13], v0 offset0:70 offset1:133
	v_add_u32_e32 v0, 0x200, v73
	v_add_u32_e32 v8, 0x1000, v73
	ds_read2_b32 v[10:11], v6 offset0:34 offset1:97
	ds_read2_b32 v[0:1], v0 offset0:124 offset1:187
	;; [unrolled: 1-line block ×4, first 2 shown]
	s_and_saveexec_b64 s[2:3], s[0:1]
	s_cbranch_execz .LBB0_7
; %bb.6:
	ds_read_b32 v24, v73 offset:1512
	ds_read_b32 v26, v73 offset:3192
	;; [unrolled: 1-line block ×3, first 2 shown]
	s_waitcnt lgkmcnt(2)
	v_lshrrev_b32_e32 v23, 16, v24
	s_waitcnt lgkmcnt(1)
	v_lshrrev_b32_e32 v48, 16, v26
	;; [unrolled: 2-line block ×3, first 2 shown]
.LBB0_7:
	s_or_b64 exec, exec, s[2:3]
	s_movk_i32 s2, 0xab
	v_mul_lo_u16_sdwa v33, v93, s2 dst_sel:DWORD dst_unused:UNUSED_PAD src0_sel:BYTE_0 src1_sel:DWORD
	v_mul_lo_u16_sdwa v34, v19, s2 dst_sel:DWORD dst_unused:UNUSED_PAD src0_sel:BYTE_0 src1_sel:DWORD
	;; [unrolled: 1-line block ×3, first 2 shown]
	v_lshrrev_b16_e32 v49, 11, v33
	v_lshrrev_b16_e32 v51, 11, v34
	;; [unrolled: 1-line block ×3, first 2 shown]
	v_mul_lo_u16_e32 v33, 12, v49
	v_mul_lo_u16_e32 v34, 12, v51
	;; [unrolled: 1-line block ×3, first 2 shown]
	v_sub_u16_e32 v33, v93, v33
	v_sub_u16_e32 v34, v19, v34
	;; [unrolled: 1-line block ×3, first 2 shown]
	v_and_b32_e32 v50, 0xff, v33
	v_and_b32_e32 v52, 0xff, v34
	;; [unrolled: 1-line block ×3, first 2 shown]
	v_mul_lo_u16_sdwa v37, v18, s2 dst_sel:DWORD dst_unused:UNUSED_PAD src0_sel:BYTE_0 src1_sel:DWORD
	v_lshlrev_b32_e32 v33, 3, v50
	v_lshlrev_b32_e32 v35, 3, v52
	v_lshrrev_b16_e32 v55, 11, v37
	global_load_dwordx2 v[33:34], v33, s[14:15] offset:40
	v_mul_lo_u16_e32 v37, 12, v55
	global_load_dwordx2 v[35:36], v35, s[14:15] offset:40
	v_sub_u16_e32 v37, v18, v37
	v_lshlrev_b32_e32 v41, 3, v54
	v_and_b32_e32 v56, 0xff, v37
	s_mov_b32 s2, 0xaaab
	v_lshlrev_b32_e32 v42, 3, v56
	global_load_dwordx2 v[39:40], v41, s[14:15] offset:40
	global_load_dwordx2 v[37:38], v42, s[14:15] offset:40
	v_mul_u32_u24_sdwa v41, v20, s2 dst_sel:DWORD dst_unused:UNUSED_PAD src0_sel:WORD_0 src1_sel:DWORD
	v_lshrrev_b32_e32 v57, 19, v41
	v_mul_lo_u16_e32 v41, 12, v57
	v_sub_u16_e32 v58, v20, v41
	v_lshlrev_b16_e32 v20, 3, v58
	v_add_co_u32_e32 v41, vcc, s14, v20
	v_mul_u32_u24_sdwa v20, v22, s2 dst_sel:DWORD dst_unused:UNUSED_PAD src0_sel:WORD_0 src1_sel:DWORD
	v_lshrrev_b32_e32 v59, 19, v20
	v_mov_b32_e32 v45, s15
	v_mul_lo_u16_e32 v20, 12, v59
	v_addc_co_u32_e32 v42, vcc, 0, v45, vcc
	v_sub_u16_e32 v22, v22, v20
	global_load_dwordx2 v[41:42], v[41:42], off offset:40
	v_lshlrev_b16_e32 v20, 3, v22
	v_add_co_u32_e32 v43, vcc, s14, v20
	v_mul_u32_u24_sdwa v20, v21, s2 dst_sel:DWORD dst_unused:UNUSED_PAD src0_sel:WORD_0 src1_sel:DWORD
	v_lshrrev_b32_e32 v60, 19, v20
	v_addc_co_u32_e32 v44, vcc, 0, v45, vcc
	global_load_dwordx2 v[43:44], v[43:44], off offset:40
	v_mul_lo_u16_e32 v20, 12, v60
	v_sub_u16_e32 v61, v21, v20
	v_lshlrev_b16_e32 v20, 3, v61
	v_add_co_u32_e32 v20, vcc, s14, v20
	v_addc_co_u32_e32 v21, vcc, 0, v45, vcc
	global_load_dwordx2 v[45:46], v[20:21], off offset:40
	s_waitcnt lgkmcnt(8)
	v_lshrrev_b32_e32 v21, 16, v14
	v_lshrrev_b32_e32 v64, 16, v15
	s_waitcnt lgkmcnt(6)
	v_lshrrev_b32_e32 v65, 16, v17
	s_waitcnt lgkmcnt(3)
	v_lshrrev_b32_e32 v67, 16, v10
	v_lshrrev_b32_e32 v68, 16, v12
	;; [unrolled: 1-line block ×4, first 2 shown]
	s_waitcnt lgkmcnt(1)
	v_lshrrev_b32_e32 v142, 16, v6
	s_waitcnt lgkmcnt(0)
	v_lshrrev_b32_e32 v143, 16, v8
	v_lshrrev_b32_e32 v62, 16, v16
	v_lshrrev_b32_e32 v145, 16, v7
	v_lshrrev_b32_e32 v146, 16, v9
	v_lshrrev_b32_e32 v20, 16, v4
	s_movk_i32 s2, 0x3aee
	s_mov_b32 s3, 0xbaee
	v_lshrrev_b32_e32 v63, 16, v5
	v_lshrrev_b32_e32 v66, 16, v2
	;; [unrolled: 1-line block ×4, first 2 shown]
	v_mul_lo_u16_e32 v49, 36, v49
	v_lshrrev_b32_e32 v144, 16, v1
	v_and_b32_e32 v49, 0xfc, v49
	s_waitcnt lgkmcnt(0)
	; wave barrier
	s_waitcnt vmcnt(6)
	v_mul_f16_sdwa v147, v21, v33 dst_sel:DWORD dst_unused:UNUSED_PAD src0_sel:DWORD src1_sel:WORD_1
	v_mul_f16_sdwa v148, v14, v33 dst_sel:DWORD dst_unused:UNUSED_PAD src0_sel:DWORD src1_sel:WORD_1
	s_waitcnt vmcnt(5)
	v_mul_f16_sdwa v151, v64, v35 dst_sel:DWORD dst_unused:UNUSED_PAD src0_sel:DWORD src1_sel:WORD_1
	v_fma_f16 v14, v14, v33, -v147
	v_fma_f16 v147, v15, v35, -v151
	v_mul_f16_sdwa v15, v15, v35 dst_sel:DWORD dst_unused:UNUSED_PAD src0_sel:DWORD src1_sel:WORD_1
	v_fma_f16 v15, v64, v35, v15
	v_mul_f16_sdwa v64, v65, v36 dst_sel:DWORD dst_unused:UNUSED_PAD src0_sel:DWORD src1_sel:WORD_1
	v_fma_f16 v64, v17, v36, -v64
	v_mul_f16_sdwa v17, v17, v36 dst_sel:DWORD dst_unused:UNUSED_PAD src0_sel:DWORD src1_sel:WORD_1
	v_fma_f16 v17, v65, v36, v17
	s_waitcnt vmcnt(4)
	v_mul_f16_sdwa v65, v67, v39 dst_sel:DWORD dst_unused:UNUSED_PAD src0_sel:DWORD src1_sel:WORD_1
	v_fma_f16 v65, v10, v39, -v65
	v_mul_f16_sdwa v10, v10, v39 dst_sel:DWORD dst_unused:UNUSED_PAD src0_sel:DWORD src1_sel:WORD_1
	v_fma_f16 v10, v67, v39, v10
	v_mul_f16_sdwa v67, v68, v40 dst_sel:DWORD dst_unused:UNUSED_PAD src0_sel:DWORD src1_sel:WORD_1
	v_fma_f16 v67, v12, v40, -v67
	v_mul_f16_sdwa v12, v12, v40 dst_sel:DWORD dst_unused:UNUSED_PAD src0_sel:DWORD src1_sel:WORD_1
	v_fma_f16 v12, v68, v40, v12
	s_waitcnt vmcnt(3)
	v_mul_f16_sdwa v68, v70, v37 dst_sel:DWORD dst_unused:UNUSED_PAD src0_sel:DWORD src1_sel:WORD_1
	;; [unrolled: 9-line block ×3, first 2 shown]
	v_fma_f16 v71, v6, v41, -v71
	v_mul_f16_sdwa v6, v6, v41 dst_sel:DWORD dst_unused:UNUSED_PAD src0_sel:DWORD src1_sel:WORD_1
	v_fma_f16 v142, v142, v41, v6
	v_mul_f16_sdwa v6, v143, v42 dst_sel:DWORD dst_unused:UNUSED_PAD src0_sel:DWORD src1_sel:WORD_1
	v_fma_f16 v21, v21, v33, v148
	v_fma_f16 v148, v8, v42, -v6
	v_mul_f16_sdwa v6, v8, v42 dst_sel:DWORD dst_unused:UNUSED_PAD src0_sel:DWORD src1_sel:WORD_1
	v_mul_f16_sdwa v149, v62, v34 dst_sel:DWORD dst_unused:UNUSED_PAD src0_sel:DWORD src1_sel:WORD_1
	v_fma_f16 v143, v143, v42, v6
	s_waitcnt vmcnt(1)
	v_mul_f16_sdwa v6, v145, v43 dst_sel:DWORD dst_unused:UNUSED_PAD src0_sel:DWORD src1_sel:WORD_1
	v_mul_f16_sdwa v150, v16, v34 dst_sel:DWORD dst_unused:UNUSED_PAD src0_sel:DWORD src1_sel:WORD_1
	v_fma_f16 v16, v16, v34, -v149
	v_fma_f16 v149, v7, v43, -v6
	v_mul_f16_sdwa v6, v7, v43 dst_sel:DWORD dst_unused:UNUSED_PAD src0_sel:DWORD src1_sel:WORD_1
	v_fma_f16 v145, v145, v43, v6
	v_mul_f16_sdwa v6, v146, v44 dst_sel:DWORD dst_unused:UNUSED_PAD src0_sel:DWORD src1_sel:WORD_1
	v_fma_f16 v62, v62, v34, v150
	v_fma_f16 v150, v9, v44, -v6
	v_mul_f16_sdwa v6, v9, v44 dst_sel:DWORD dst_unused:UNUSED_PAD src0_sel:DWORD src1_sel:WORD_1
	v_fma_f16 v146, v146, v44, v6
	s_waitcnt vmcnt(0)
	v_mul_f16_sdwa v6, v48, v45 dst_sel:DWORD dst_unused:UNUSED_PAD src0_sel:DWORD src1_sel:WORD_1
	v_fma_f16 v6, v26, v45, -v6
	v_mul_f16_sdwa v7, v26, v45 dst_sel:DWORD dst_unused:UNUSED_PAD src0_sel:DWORD src1_sel:WORD_1
	v_mul_f16_sdwa v9, v27, v46 dst_sel:DWORD dst_unused:UNUSED_PAD src0_sel:DWORD src1_sel:WORD_1
	v_add_f16_e32 v26, v14, v16
	v_fma_f16 v8, v48, v45, v7
	v_mul_f16_sdwa v7, v25, v46 dst_sel:DWORD dst_unused:UNUSED_PAD src0_sel:DWORD src1_sel:WORD_1
	v_fma_f16 v9, v25, v46, v9
	v_add_f16_e32 v25, v4, v14
	v_fma_f16 v4, v26, -0.5, v4
	v_sub_f16_e32 v26, v21, v62
	v_fma_f16 v7, v27, v46, -v7
	v_fma_f16 v27, v26, s2, v4
	v_fma_f16 v4, v26, s3, v4
	v_add_f16_e32 v26, v20, v21
	v_add_f16_e32 v21, v21, v62
	v_fma_f16 v20, v21, -0.5, v20
	v_sub_f16_e32 v14, v14, v16
	v_add_f16_e32 v21, v147, v64
	v_add_f16_e32 v25, v25, v16
	v_fma_f16 v16, v14, s3, v20
	v_fma_f16 v14, v14, s2, v20
	v_add_f16_e32 v20, v5, v147
	v_fma_f16 v5, v21, -0.5, v5
	v_sub_f16_e32 v21, v15, v17
	v_fma_f16 v48, v21, s2, v5
	v_fma_f16 v5, v21, s3, v5
	v_add_f16_e32 v21, v63, v15
	v_add_f16_e32 v15, v15, v17
	;; [unrolled: 1-line block ×3, first 2 shown]
	v_fma_f16 v15, v15, -0.5, v63
	v_sub_f16_e32 v17, v147, v64
	v_add_f16_e32 v63, v65, v67
	v_add_f16_e32 v26, v26, v62
	v_fma_f16 v62, v17, s3, v15
	v_fma_f16 v15, v17, s2, v15
	v_add_f16_e32 v17, v2, v65
	v_fma_f16 v2, v63, -0.5, v2
	v_sub_f16_e32 v63, v10, v12
	v_add_f16_e32 v20, v20, v64
	v_fma_f16 v64, v63, s2, v2
	v_fma_f16 v63, v63, s3, v2
	v_add_f16_e32 v2, v66, v10
	v_add_f16_e32 v147, v2, v12
	;; [unrolled: 1-line block ×3, first 2 shown]
	v_fma_f16 v2, v2, -0.5, v66
	v_sub_f16_e32 v10, v65, v67
	v_fma_f16 v12, v10, s3, v2
	v_fma_f16 v10, v10, s2, v2
	v_add_f16_e32 v2, v3, v68
	v_add_f16_e32 v65, v2, v70
	v_add_f16_e32 v2, v68, v70
	v_fma_f16 v2, v2, -0.5, v3
	v_sub_f16_e32 v3, v11, v13
	v_add_f16_e32 v17, v17, v67
	v_fma_f16 v66, v3, s2, v2
	v_fma_f16 v67, v3, s3, v2
	v_add_f16_e32 v2, v69, v11
	v_add_f16_e32 v151, v2, v13
	v_add_f16_e32 v2, v11, v13
	v_fma_f16 v2, v2, -0.5, v69
	v_sub_f16_e32 v3, v68, v70
	v_fma_f16 v11, v3, s3, v2
	v_fma_f16 v13, v3, s2, v2
	v_add_f16_e32 v2, v0, v71
	v_add_f16_e32 v68, v2, v148
	v_add_f16_e32 v2, v71, v148
	v_fma_f16 v0, v2, -0.5, v0
	v_sub_f16_e32 v2, v142, v143
	;; [unrolled: 7-line block ×4, first 2 shown]
	v_fma_f16 v158, v1, s2, v0
	v_fma_f16 v159, v1, s3, v0
	v_add_f16_e32 v0, v144, v145
	v_add_lshl_u32 v142, v49, v50, 2
	v_pack_b32_f16 v4, v4, v14
	v_add_f16_e32 v160, v0, v146
	v_add_f16_e32 v0, v145, v146
	ds_write_b32 v142, v4 offset:96
	v_mul_u32_u24_e32 v4, 36, v51
	v_fma_f16 v0, v0, -0.5, v144
	v_pack_b32_f16 v25, v25, v26
	v_pack_b32_f16 v16, v27, v16
	v_add_lshl_u32 v144, v4, v52, 2
	v_pack_b32_f16 v4, v20, v21
	v_pack_b32_f16 v14, v48, v62
	ds_write2_b32 v142, v25, v16 offset1:12
	ds_write2_b32 v144, v4, v14 offset1:12
	v_pack_b32_f16 v4, v5, v15
	ds_write_b32 v144, v4 offset:96
	v_mul_u32_u24_e32 v4, 36, v53
	v_add_lshl_u32 v145, v4, v54, 2
	v_pack_b32_f16 v4, v17, v147
	v_pack_b32_f16 v5, v64, v12
	ds_write2_b32 v145, v4, v5 offset1:12
	v_pack_b32_f16 v4, v63, v10
	ds_write_b32 v145, v4 offset:96
	v_mul_u32_u24_e32 v4, 36, v55
	v_add_lshl_u32 v146, v4, v56, 2
	v_pack_b32_f16 v4, v65, v151
	v_pack_b32_f16 v5, v66, v11
	ds_write2_b32 v146, v4, v5 offset1:12
	v_pack_b32_f16 v4, v67, v13
	ds_write_b32 v146, v4 offset:96
	v_mad_legacy_u16 v4, v57, 36, v58
	v_lshlrev_b32_e32 v147, 2, v4
	v_pack_b32_f16 v4, v68, v152
	v_pack_b32_f16 v5, v69, v71
	v_sub_f16_e32 v1, v149, v150
	ds_write2_b32 v147, v4, v5 offset1:12
	v_pack_b32_f16 v4, v70, v72
	v_fma_f16 v149, v1, s3, v0
	v_fma_f16 v150, v1, s2, v0
	v_add_f16_e32 v0, v6, v7
	v_add_f16_e32 v2, v8, v9
	ds_write_b32 v147, v4 offset:96
	v_mad_legacy_u16 v4, v59, 36, v22
	v_fma_f16 v0, v0, -0.5, v24
	v_sub_f16_e32 v1, v8, v9
	v_fma_f16 v2, v2, -0.5, v23
	v_sub_f16_e32 v3, v6, v7
	v_lshlrev_b32_e32 v148, 2, v4
	v_pack_b32_f16 v4, v143, v160
	v_pack_b32_f16 v5, v158, v149
	v_fma_f16 v156, v1, s3, v0
	v_fma_f16 v157, v3, s2, v2
	ds_write2_b32 v148, v4, v5 offset1:12
	v_pack_b32_f16 v4, v159, v150
	v_mad_legacy_u16 v143, v60, 36, v61
	ds_write_b32 v148, v4 offset:96
	s_and_saveexec_b64 s[2:3], s[0:1]
	s_cbranch_execz .LBB0_9
; %bb.8:
	v_mul_f16_e32 v1, 0x3aee, v1
	v_mul_f16_e32 v3, 0x3aee, v3
	v_sub_f16_e32 v2, v2, v3
	v_add_f16_e32 v0, v1, v0
	v_add_f16_e32 v1, v23, v8
	;; [unrolled: 1-line block ×5, first 2 shown]
	v_lshlrev_b32_e32 v4, 2, v143
	v_pack_b32_f16 v1, v3, v1
	v_pack_b32_f16 v0, v0, v2
	s_mov_b32 s6, 0x5040100
	ds_write2_b32 v4, v1, v0 offset1:12
	v_perm_b32 v0, v157, v156, s6
	ds_write_b32 v4, v0 offset:96
.LBB0_9:
	s_or_b64 exec, exec, s[2:3]
	s_movk_i32 s2, 0xffdc
	v_add_co_u32_e32 v0, vcc, s2, v93
	v_addc_co_u32_e64 v1, s[2:3], 0, -1, vcc
	v_cmp_gt_u16_e32 vcc, 36, v93
	v_cndmask_b32_e64 v1, v1, 0, vcc
	v_cndmask_b32_e32 v0, v0, v93, vcc
	v_lshlrev_b64 v[1:2], 4, v[0:1]
	v_mov_b32_e32 v3, s15
	v_add_co_u32_e32 v1, vcc, s14, v1
	v_addc_co_u32_e32 v2, vcc, v3, v2, vcc
	v_mov_b32_e32 v3, 57
	s_waitcnt lgkmcnt(0)
	; wave barrier
	s_waitcnt lgkmcnt(0)
	global_load_dwordx4 v[4:7], v[1:2], off offset:136
	v_mul_lo_u16_sdwa v1, v19, v3 dst_sel:DWORD dst_unused:UNUSED_PAD src0_sel:BYTE_0 src1_sel:DWORD
	v_lshrrev_b16_e32 v61, 11, v1
	v_mul_lo_u16_e32 v1, 36, v61
	v_sub_u16_e32 v1, v19, v1
	v_and_b32_e32 v62, 0xff, v1
	v_lshlrev_b32_e32 v1, 4, v62
	global_load_dwordx4 v[8:11], v1, s[14:15] offset:136
	v_mul_lo_u16_sdwa v1, v47, v3 dst_sel:DWORD dst_unused:UNUSED_PAD src0_sel:BYTE_0 src1_sel:DWORD
	v_lshrrev_b16_e32 v63, 11, v1
	v_mul_lo_u16_e32 v1, 36, v63
	v_sub_u16_e32 v1, v47, v1
	v_and_b32_e32 v64, 0xff, v1
	v_lshlrev_b32_e32 v1, 4, v64
	global_load_dwordx4 v[12:15], v1, s[14:15] offset:136
	;; [unrolled: 7-line block ×3, first 2 shown]
	v_add_u32_e32 v22, 0x200, v73
	v_add_u32_e32 v24, 0x600, v73
	;; [unrolled: 1-line block ×3, first 2 shown]
	ds_read2_b32 v[1:2], v73 offset1:63
	v_add_u32_e32 v67, 0xa00, v73
	ds_read2_b32 v[20:21], v73 offset0:126 offset1:189
	v_add_u32_e32 v65, 0x400, v73
	v_add_u32_e32 v68, 0x800, v73
	;; [unrolled: 1-line block ×4, first 2 shown]
	ds_read2_b32 v[22:23], v22 offset0:124 offset1:187
	ds_read2_b32 v[24:25], v24 offset0:120 offset1:183
	;; [unrolled: 1-line block ×8, first 2 shown]
	s_waitcnt lgkmcnt(7)
	v_lshrrev_b32_e32 v72, 16, v22
	s_waitcnt lgkmcnt(4)
	v_lshrrev_b32_e32 v151, 16, v48
	v_lshrrev_b32_e32 v152, 16, v23
	;; [unrolled: 1-line block ×5, first 2 shown]
	s_waitcnt lgkmcnt(3)
	v_lshrrev_b32_e32 v161, 16, v50
	s_waitcnt lgkmcnt(2)
	v_lshrrev_b32_e32 v162, 16, v52
	;; [unrolled: 2-line block ×4, first 2 shown]
	v_lshrrev_b32_e32 v165, 16, v51
	v_lshrrev_b32_e32 v166, 16, v53
	;; [unrolled: 1-line block ×6, first 2 shown]
	s_movk_i32 s3, 0x3b9c
	s_mov_b32 s7, 0xbb9c
	s_movk_i32 s2, 0x38b4
	s_mov_b32 s16, 0xb8b4
	s_movk_i32 s6, 0x34f2
	v_lshrrev_b32_e32 v58, 16, v1
	v_lshrrev_b32_e32 v59, 16, v2
	;; [unrolled: 1-line block ×4, first 2 shown]
	v_cmp_lt_u16_e32 vcc, 35, v93
	s_waitcnt lgkmcnt(0)
	; wave barrier
	s_waitcnt vmcnt(3)
	v_mul_f16_sdwa v169, v72, v4 dst_sel:DWORD dst_unused:UNUSED_PAD src0_sel:DWORD src1_sel:WORD_1
	v_mul_f16_sdwa v170, v22, v4 dst_sel:DWORD dst_unused:UNUSED_PAD src0_sel:DWORD src1_sel:WORD_1
	v_fma_f16 v22, v22, v4, -v169
	v_mul_f16_sdwa v169, v151, v7 dst_sel:DWORD dst_unused:UNUSED_PAD src0_sel:DWORD src1_sel:WORD_1
	v_fma_f16 v169, v48, v7, -v169
	v_mul_f16_sdwa v48, v48, v7 dst_sel:DWORD dst_unused:UNUSED_PAD src0_sel:DWORD src1_sel:WORD_1
	v_fma_f16 v48, v151, v7, v48
	s_waitcnt vmcnt(2)
	v_mul_f16_sdwa v151, v152, v8 dst_sel:DWORD dst_unused:UNUSED_PAD src0_sel:DWORD src1_sel:WORD_1
	v_fma_f16 v151, v23, v8, -v151
	v_mul_f16_sdwa v23, v23, v8 dst_sel:DWORD dst_unused:UNUSED_PAD src0_sel:DWORD src1_sel:WORD_1
	v_fma_f16 v23, v152, v8, v23
	v_mul_f16_sdwa v152, v158, v9 dst_sel:DWORD dst_unused:UNUSED_PAD src0_sel:DWORD src1_sel:WORD_1
	v_fma_f16 v152, v25, v9, -v152
	v_mul_f16_sdwa v25, v25, v9 dst_sel:DWORD dst_unused:UNUSED_PAD src0_sel:DWORD src1_sel:WORD_1
	v_fma_f16 v25, v158, v9, v25
	;; [unrolled: 4-line block ×4, first 2 shown]
	s_waitcnt vmcnt(1)
	v_mul_f16_sdwa v160, v161, v12 dst_sel:DWORD dst_unused:UNUSED_PAD src0_sel:DWORD src1_sel:WORD_1
	v_fma_f16 v160, v50, v12, -v160
	v_mul_f16_sdwa v50, v50, v12 dst_sel:DWORD dst_unused:UNUSED_PAD src0_sel:DWORD src1_sel:WORD_1
	v_fma_f16 v50, v161, v12, v50
	v_mul_f16_sdwa v161, v162, v13 dst_sel:DWORD dst_unused:UNUSED_PAD src0_sel:DWORD src1_sel:WORD_1
	v_fma_f16 v161, v52, v13, -v161
	v_mul_f16_sdwa v52, v52, v13 dst_sel:DWORD dst_unused:UNUSED_PAD src0_sel:DWORD src1_sel:WORD_1
	v_fma_f16 v52, v162, v13, v52
	;; [unrolled: 4-line block ×4, first 2 shown]
	s_waitcnt vmcnt(0)
	v_mul_f16_sdwa v164, v165, v16 dst_sel:DWORD dst_unused:UNUSED_PAD src0_sel:DWORD src1_sel:WORD_1
	v_fma_f16 v164, v51, v16, -v164
	v_mul_f16_sdwa v51, v51, v16 dst_sel:DWORD dst_unused:UNUSED_PAD src0_sel:DWORD src1_sel:WORD_1
	v_fma_f16 v51, v165, v16, v51
	v_mul_f16_sdwa v165, v166, v17 dst_sel:DWORD dst_unused:UNUSED_PAD src0_sel:DWORD src1_sel:WORD_1
	v_fma_f16 v165, v53, v17, -v165
	v_mul_f16_sdwa v53, v53, v17 dst_sel:DWORD dst_unused:UNUSED_PAD src0_sel:DWORD src1_sel:WORD_1
	v_fma_f16 v166, v166, v17, v53
	v_mul_f16_sdwa v53, v167, v18 dst_sel:DWORD dst_unused:UNUSED_PAD src0_sel:DWORD src1_sel:WORD_1
	v_fma_f16 v72, v72, v4, v170
	v_fma_f16 v170, v55, v18, -v53
	v_mul_f16_sdwa v53, v55, v18 dst_sel:DWORD dst_unused:UNUSED_PAD src0_sel:DWORD src1_sel:WORD_1
	v_fma_f16 v55, v167, v18, v53
	v_mul_f16_sdwa v53, v168, v19 dst_sel:DWORD dst_unused:UNUSED_PAD src0_sel:DWORD src1_sel:WORD_1
	v_mul_f16_sdwa v171, v149, v5 dst_sel:DWORD dst_unused:UNUSED_PAD src0_sel:DWORD src1_sel:WORD_1
	v_fma_f16 v167, v57, v19, -v53
	v_mul_f16_sdwa v53, v57, v19 dst_sel:DWORD dst_unused:UNUSED_PAD src0_sel:DWORD src1_sel:WORD_1
	v_mul_f16_sdwa v172, v24, v5 dst_sel:DWORD dst_unused:UNUSED_PAD src0_sel:DWORD src1_sel:WORD_1
	;; [unrolled: 1-line block ×3, first 2 shown]
	v_fma_f16 v24, v24, v5, -v171
	v_fma_f16 v168, v168, v19, v53
	v_add_f16_e32 v53, v1, v22
	v_mul_f16_sdwa v174, v26, v6 dst_sel:DWORD dst_unused:UNUSED_PAD src0_sel:DWORD src1_sel:WORD_1
	v_fma_f16 v26, v26, v6, -v173
	v_add_f16_e32 v53, v53, v24
	v_add_f16_e32 v53, v53, v26
	;; [unrolled: 1-line block ×4, first 2 shown]
	v_fma_f16 v149, v149, v5, v172
	v_fma_f16 v150, v150, v6, v174
	v_fma_f16 v53, v53, -0.5, v1
	v_sub_f16_e32 v57, v72, v48
	v_fma_f16 v172, v57, s3, v53
	v_sub_f16_e32 v173, v149, v150
	v_sub_f16_e32 v174, v22, v24
	;; [unrolled: 1-line block ×3, first 2 shown]
	v_fma_f16 v53, v57, s7, v53
	v_fma_f16 v172, v173, s2, v172
	v_add_f16_e32 v174, v174, v175
	v_fma_f16 v53, v173, s16, v53
	v_fma_f16 v172, v174, s6, v172
	v_fma_f16 v174, v174, s6, v53
	v_add_f16_e32 v53, v22, v169
	v_fma_f16 v1, v53, -0.5, v1
	v_fma_f16 v53, v173, s7, v1
	v_sub_f16_e32 v175, v24, v22
	v_sub_f16_e32 v176, v26, v169
	v_fma_f16 v53, v57, s2, v53
	v_add_f16_e32 v175, v175, v176
	v_fma_f16 v176, v175, s6, v53
	v_add_f16_e32 v53, v58, v72
	v_add_f16_e32 v53, v53, v149
	;; [unrolled: 1-line block ×3, first 2 shown]
	v_fma_f16 v1, v173, s3, v1
	v_add_f16_e32 v173, v53, v48
	v_add_f16_e32 v53, v149, v150
	v_fma_f16 v53, v53, -0.5, v58
	v_sub_f16_e32 v22, v22, v169
	v_fma_f16 v1, v57, s16, v1
	v_fma_f16 v57, v22, s7, v53
	v_sub_f16_e32 v24, v24, v26
	v_fma_f16 v26, v24, s16, v57
	v_sub_f16_e32 v57, v72, v149
	v_sub_f16_e32 v169, v48, v150
	v_fma_f16 v53, v22, s3, v53
	v_add_f16_e32 v57, v57, v169
	v_fma_f16 v53, v24, s2, v53
	v_fma_f16 v169, v57, s6, v53
	v_add_f16_e32 v53, v72, v48
	v_fma_f16 v53, v53, -0.5, v58
	v_fma_f16 v26, v57, s6, v26
	v_fma_f16 v57, v24, s3, v53
	v_sub_f16_e32 v58, v149, v72
	v_sub_f16_e32 v48, v150, v48
	v_fma_f16 v24, v24, s7, v53
	v_fma_f16 v57, v22, s16, v57
	v_add_f16_e32 v48, v58, v48
	v_fma_f16 v22, v22, s2, v24
	v_fma_f16 v72, v48, s6, v57
	;; [unrolled: 1-line block ×3, first 2 shown]
	v_add_f16_e32 v48, v152, v158
	v_fma_f16 v48, v48, -0.5, v2
	v_sub_f16_e32 v53, v23, v49
	v_fma_f16 v57, v53, s3, v48
	v_sub_f16_e32 v58, v25, v27
	v_sub_f16_e32 v149, v151, v152
	;; [unrolled: 1-line block ×3, first 2 shown]
	v_fma_f16 v57, v58, s2, v57
	v_add_f16_e32 v149, v149, v150
	v_fma_f16 v1, v175, s6, v1
	v_fma_f16 v175, v149, s6, v57
	v_add_f16_e32 v57, v151, v159
	v_add_f16_e32 v24, v2, v151
	v_fma_f16 v2, v57, -0.5, v2
	v_fma_f16 v57, v58, s7, v2
	v_fma_f16 v2, v58, s3, v2
	;; [unrolled: 1-line block ×5, first 2 shown]
	v_add_f16_e32 v53, v59, v23
	v_fma_f16 v48, v58, s16, v48
	v_add_f16_e32 v53, v53, v25
	v_fma_f16 v48, v149, s6, v48
	v_sub_f16_e32 v149, v152, v151
	v_sub_f16_e32 v150, v158, v159
	v_add_f16_e32 v53, v53, v27
	v_add_f16_e32 v149, v149, v150
	;; [unrolled: 1-line block ×4, first 2 shown]
	v_fma_f16 v177, v149, s6, v57
	v_fma_f16 v53, v53, -0.5, v59
	v_sub_f16_e32 v57, v151, v159
	v_fma_f16 v2, v149, s6, v2
	v_fma_f16 v58, v57, s7, v53
	v_sub_f16_e32 v149, v152, v158
	v_sub_f16_e32 v150, v23, v25
	;; [unrolled: 1-line block ×3, first 2 shown]
	v_fma_f16 v53, v57, s3, v53
	v_add_f16_e32 v150, v150, v151
	v_fma_f16 v53, v149, s2, v53
	v_add_f16_e32 v24, v24, v152
	v_fma_f16 v152, v150, s6, v53
	v_add_f16_e32 v53, v23, v49
	v_fma_f16 v58, v149, s16, v58
	v_fma_f16 v53, v53, -0.5, v59
	v_fma_f16 v151, v150, s6, v58
	v_fma_f16 v58, v149, s3, v53
	v_sub_f16_e32 v23, v25, v23
	v_sub_f16_e32 v25, v27, v49
	v_fma_f16 v27, v149, s7, v53
	v_add_f16_e32 v49, v161, v162
	v_fma_f16 v58, v57, s16, v58
	v_add_f16_e32 v23, v23, v25
	v_fma_f16 v27, v57, s2, v27
	v_fma_f16 v49, v49, -0.5, v20
	v_sub_f16_e32 v57, v50, v56
	v_fma_f16 v25, v23, s6, v58
	v_fma_f16 v53, v57, s3, v49
	v_sub_f16_e32 v58, v52, v54
	v_sub_f16_e32 v59, v160, v161
	;; [unrolled: 1-line block ×3, first 2 shown]
	v_fma_f16 v49, v57, s7, v49
	v_fma_f16 v53, v58, s2, v53
	v_add_f16_e32 v59, v59, v149
	v_fma_f16 v49, v58, s16, v49
	v_add_f16_e32 v24, v24, v158
	v_fma_f16 v158, v59, s6, v53
	v_fma_f16 v53, v59, s6, v49
	v_add_f16_e32 v49, v160, v163
	v_fma_f16 v23, v23, s6, v27
	v_add_f16_e32 v27, v20, v160
	v_fma_f16 v20, v49, -0.5, v20
	v_fma_f16 v49, v58, s7, v20
	v_fma_f16 v20, v58, s3, v20
	;; [unrolled: 1-line block ×4, first 2 shown]
	v_add_f16_e32 v57, v60, v50
	v_add_f16_e32 v57, v57, v52
	;; [unrolled: 1-line block ×3, first 2 shown]
	v_sub_f16_e32 v59, v161, v160
	v_sub_f16_e32 v149, v162, v163
	v_add_f16_e32 v179, v57, v56
	v_add_f16_e32 v57, v52, v54
	;; [unrolled: 1-line block ×3, first 2 shown]
	v_fma_f16 v57, v57, -0.5, v60
	v_sub_f16_e32 v58, v160, v163
	v_add_f16_e32 v24, v24, v159
	v_fma_f16 v49, v59, s6, v49
	v_fma_f16 v20, v59, s6, v20
	;; [unrolled: 1-line block ×3, first 2 shown]
	v_sub_f16_e32 v149, v161, v162
	v_sub_f16_e32 v150, v50, v52
	;; [unrolled: 1-line block ×3, first 2 shown]
	v_fma_f16 v57, v58, s3, v57
	v_add_f16_e32 v150, v150, v159
	v_fma_f16 v57, v149, s2, v57
	v_fma_f16 v159, v150, s6, v57
	v_add_f16_e32 v57, v50, v56
	v_fma_f16 v59, v149, s16, v59
	v_fma_f16 v57, v57, -0.5, v60
	v_fma_f16 v180, v150, s6, v59
	v_fma_f16 v59, v149, s3, v57
	v_sub_f16_e32 v50, v52, v50
	v_sub_f16_e32 v52, v54, v56
	v_add_f16_e32 v56, v165, v170
	v_fma_f16 v59, v58, s16, v59
	v_add_f16_e32 v50, v50, v52
	v_fma_f16 v54, v149, s7, v57
	v_fma_f16 v56, v56, -0.5, v21
	v_sub_f16_e32 v57, v51, v168
	v_fma_f16 v52, v50, s6, v59
	v_fma_f16 v54, v58, s2, v54
	;; [unrolled: 1-line block ×3, first 2 shown]
	v_sub_f16_e32 v149, v166, v55
	v_sub_f16_e32 v59, v164, v165
	v_sub_f16_e32 v60, v167, v170
	v_fma_f16 v56, v57, s7, v56
	v_fma_f16 v58, v149, s2, v58
	v_add_f16_e32 v60, v59, v60
	v_fma_f16 v56, v149, s16, v56
	v_fma_f16 v59, v60, s6, v58
	;; [unrolled: 1-line block ×3, first 2 shown]
	v_add_f16_e32 v56, v164, v167
	v_fma_f16 v50, v50, s6, v54
	v_add_f16_e32 v54, v21, v164
	v_fma_f16 v21, v56, -0.5, v21
	v_fma_f16 v56, v149, s7, v21
	v_sub_f16_e32 v60, v165, v164
	v_sub_f16_e32 v150, v170, v167
	v_fma_f16 v21, v149, s3, v21
	v_add_f16_e32 v150, v60, v150
	v_fma_f16 v21, v57, s16, v21
	v_fma_f16 v56, v57, s2, v56
	;; [unrolled: 1-line block ×3, first 2 shown]
	v_add_f16_e32 v21, v70, v51
	v_add_f16_e32 v21, v21, v166
	;; [unrolled: 1-line block ×6, first 2 shown]
	v_fma_f16 v60, v150, s6, v56
	v_fma_f16 v21, v21, -0.5, v70
	v_sub_f16_e32 v56, v164, v167
	v_add_f16_e32 v27, v27, v162
	v_fma_f16 v149, v56, s7, v21
	v_sub_f16_e32 v150, v165, v170
	v_sub_f16_e32 v161, v51, v166
	;; [unrolled: 1-line block ×3, first 2 shown]
	v_fma_f16 v21, v56, s3, v21
	v_fma_f16 v149, v150, s16, v149
	v_add_f16_e32 v161, v161, v162
	v_fma_f16 v21, v150, s2, v21
	v_fma_f16 v162, v161, s6, v149
	v_fma_f16 v161, v161, s6, v21
	v_add_f16_e32 v21, v51, v168
	v_fma_f16 v21, v21, -0.5, v70
	v_fma_f16 v70, v150, s3, v21
	v_sub_f16_e32 v51, v166, v51
	v_sub_f16_e32 v55, v55, v168
	v_fma_f16 v21, v150, s7, v21
	v_add_f16_e32 v51, v51, v55
	v_fma_f16 v21, v56, s2, v21
	v_add_f16_e32 v27, v27, v163
	v_fma_f16 v163, v51, s6, v21
	v_mov_b32_e32 v21, 0xb4
	v_cndmask_b32_e32 v21, 0, v21, vcc
	v_add_lshl_u32 v149, v0, v21, 2
	v_pack_b32_f16 v0, v171, v173
	v_pack_b32_f16 v21, v172, v26
	ds_write2_b32 v149, v0, v21 offset1:36
	v_pack_b32_f16 v0, v176, v72
	v_pack_b32_f16 v1, v1, v22
	ds_write2_b32 v149, v0, v1 offset0:72 offset1:108
	v_pack_b32_f16 v0, v174, v169
	ds_write_b32 v149, v0 offset:576
	v_mul_u32_u24_e32 v0, 0xb4, v61
	v_add_lshl_u32 v150, v0, v62, 2
	v_pack_b32_f16 v0, v24, v178
	v_pack_b32_f16 v1, v175, v151
	ds_write2_b32 v150, v0, v1 offset1:36
	v_pack_b32_f16 v0, v177, v25
	v_pack_b32_f16 v1, v2, v23
	ds_write2_b32 v150, v0, v1 offset0:72 offset1:108
	v_pack_b32_f16 v0, v48, v152
	ds_write_b32 v150, v0 offset:576
	v_mul_u32_u24_e32 v0, 0xb4, v63
	v_add_lshl_u32 v151, v0, v64, 2
	v_pack_b32_f16 v0, v27, v179
	v_pack_b32_f16 v1, v158, v180
	v_add_f16_e32 v54, v54, v165
	ds_write2_b32 v151, v0, v1 offset1:36
	v_pack_b32_f16 v0, v49, v52
	v_pack_b32_f16 v1, v20, v50
	v_add_f16_e32 v54, v54, v170
	ds_write2_b32 v151, v0, v1 offset0:72 offset1:108
	v_pack_b32_f16 v0, v53, v159
	v_add_f16_e32 v54, v54, v167
	v_fma_f16 v70, v56, s16, v70
	ds_write_b32 v151, v0 offset:576
	v_mul_u32_u24_e32 v0, 0xb4, v3
	v_fma_f16 v164, v51, s6, v70
	v_add_lshl_u32 v152, v0, v66, 2
	v_pack_b32_f16 v0, v54, v160
	v_pack_b32_f16 v1, v59, v162
	ds_write2_b32 v152, v0, v1 offset1:36
	v_pack_b32_f16 v0, v60, v164
	v_pack_b32_f16 v1, v57, v163
	ds_write2_b32 v152, v0, v1 offset0:72 offset1:108
	v_pack_b32_f16 v0, v58, v161
	ds_write_b32 v152, v0 offset:576
	s_waitcnt lgkmcnt(0)
	; wave barrier
	s_waitcnt lgkmcnt(0)
	ds_read2_b32 v[55:56], v73 offset1:63
	ds_read2_b32 v[61:62], v73 offset0:180 offset1:243
	ds_read2_b32 v[63:64], v65 offset0:104 offset1:167
	;; [unrolled: 1-line block ×6, first 2 shown]
	v_cmp_gt_u16_e64 s[2:3], 54, v93
	s_and_saveexec_b64 s[6:7], s[2:3]
	s_cbranch_execz .LBB0_11
; %bb.10:
	v_add_u32_e32 v0, 0x100, v73
	ds_read2_b32 v[53:54], v0 offset0:62 offset1:242
	v_add_u32_e32 v0, 0x700, v73
	v_add_u32_e32 v1, 0xd00, v73
	ds_read2_b32 v[59:60], v0 offset0:38 offset1:218
	ds_read2_b32 v[57:58], v1 offset0:14 offset1:194
	ds_read_b32 v156, v73 offset:4824
	s_waitcnt lgkmcnt(3)
	v_lshrrev_b32_e32 v159, 16, v53
	v_lshrrev_b32_e32 v160, 16, v54
	s_waitcnt lgkmcnt(2)
	v_lshrrev_b32_e32 v162, 16, v59
	v_lshrrev_b32_e32 v164, 16, v60
	;; [unrolled: 3-line block ×3, first 2 shown]
	s_waitcnt lgkmcnt(0)
	v_lshrrev_b32_e32 v157, 16, v156
.LBB0_11:
	s_or_b64 exec, exec, s[6:7]
	v_subrev_u32_e32 v2, 54, v93
	v_mad_u64_u32 v[0:1], s[6:7], v93, 24, s[14:15]
	v_cndmask_b32_e64 v2, v2, v47, s[2:3]
	v_mul_hi_i32_i24_e32 v48, 24, v2
	v_mul_i32_i24_e32 v2, 24, v2
	v_mov_b32_e32 v3, s15
	v_add_co_u32_e32 v47, vcc, s14, v2
	v_addc_co_u32_e32 v48, vcc, v3, v48, vcc
	global_load_dwordx4 v[20:23], v[0:1], off offset:712
	global_load_dwordx2 v[49:50], v[0:1], off offset:728
	global_load_dwordx4 v[24:27], v[0:1], off offset:2224
	global_load_dwordx2 v[51:52], v[0:1], off offset:2240
	s_nop 0
	global_load_dwordx4 v[0:3], v[47:48], off offset:712
	s_nop 0
	global_load_dwordx2 v[47:48], v[47:48], off offset:728
	v_lshlrev_b32_e32 v158, 3, v154
	v_lshlrev_b32_e32 v154, 2, v155
	s_waitcnt lgkmcnt(5)
	v_lshrrev_b32_e32 v155, 16, v61
	s_waitcnt lgkmcnt(4)
	v_lshrrev_b32_e32 v165, 16, v63
	;; [unrolled: 2-line block ×4, first 2 shown]
	v_lshrrev_b32_e32 v166, 16, v65
	v_lshrrev_b32_e32 v167, 16, v67
	;; [unrolled: 1-line block ×6, first 2 shown]
	s_movk_i32 s6, 0x2b26
	s_movk_i32 s14, 0x3b00
	s_mov_b32 s17, 0xbcab
	s_movk_i32 s15, 0x39e0
	s_mov_b32 s16, 0xb9e0
	;; [unrolled: 2-line block ×3, first 2 shown]
	v_lshrrev_b32_e32 v172, 16, v66
	v_lshrrev_b32_e32 v173, 16, v68
	s_movk_i32 s20, 0x370e
	s_mov_b32 s7, 0xb846
	v_lshlrev_b32_e32 v153, 3, v153
	s_waitcnt vmcnt(5)
	v_mul_f16_sdwa v176, v155, v20 dst_sel:DWORD dst_unused:UNUSED_PAD src0_sel:DWORD src1_sel:WORD_1
	v_mul_f16_sdwa v177, v61, v20 dst_sel:DWORD dst_unused:UNUSED_PAD src0_sel:DWORD src1_sel:WORD_1
	v_fma_f16 v61, v61, v20, -v176
	s_waitcnt vmcnt(1)
	v_mul_f16_sdwa v200, v160, v0 dst_sel:DWORD dst_unused:UNUSED_PAD src0_sel:DWORD src1_sel:WORD_1
	v_mul_f16_sdwa v201, v54, v0 dst_sel:DWORD dst_unused:UNUSED_PAD src0_sel:DWORD src1_sel:WORD_1
	;; [unrolled: 1-line block ×3, first 2 shown]
	v_fma_f16 v176, v54, v0, -v200
	v_mul_f16_sdwa v54, v59, v1 dst_sel:DWORD dst_unused:UNUSED_PAD src0_sel:DWORD src1_sel:WORD_1
	v_fma_f16 v155, v155, v20, v177
	v_fma_f16 v177, v59, v1, -v202
	v_fma_f16 v59, v162, v1, v54
	v_mul_f16_sdwa v54, v164, v2 dst_sel:DWORD dst_unused:UNUSED_PAD src0_sel:DWORD src1_sel:WORD_1
	v_fma_f16 v162, v60, v2, -v54
	v_mul_f16_sdwa v54, v60, v2 dst_sel:DWORD dst_unused:UNUSED_PAD src0_sel:DWORD src1_sel:WORD_1
	v_mul_f16_sdwa v178, v165, v21 dst_sel:DWORD dst_unused:UNUSED_PAD src0_sel:DWORD src1_sel:WORD_1
	v_fma_f16 v164, v164, v2, v54
	v_mul_f16_sdwa v54, v163, v3 dst_sel:DWORD dst_unused:UNUSED_PAD src0_sel:DWORD src1_sel:WORD_1
	v_mul_f16_sdwa v179, v63, v21 dst_sel:DWORD dst_unused:UNUSED_PAD src0_sel:DWORD src1_sel:WORD_1
	v_fma_f16 v63, v63, v21, -v178
	v_fma_f16 v178, v57, v3, -v54
	v_mul_f16_sdwa v54, v57, v3 dst_sel:DWORD dst_unused:UNUSED_PAD src0_sel:DWORD src1_sel:WORD_1
	v_fma_f16 v163, v163, v3, v54
	s_waitcnt vmcnt(0)
	v_mul_f16_sdwa v54, v161, v47 dst_sel:DWORD dst_unused:UNUSED_PAD src0_sel:DWORD src1_sel:WORD_1
	v_fma_f16 v57, v58, v47, -v54
	v_mul_f16_sdwa v54, v58, v47 dst_sel:DWORD dst_unused:UNUSED_PAD src0_sel:DWORD src1_sel:WORD_1
	v_mul_f16_sdwa v184, v168, v49 dst_sel:DWORD dst_unused:UNUSED_PAD src0_sel:DWORD src1_sel:WORD_1
	;; [unrolled: 1-line block ×5, first 2 shown]
	v_fma_f16 v161, v161, v47, v54
	v_mul_f16_sdwa v54, v157, v48 dst_sel:DWORD dst_unused:UNUSED_PAD src0_sel:DWORD src1_sel:WORD_1
	v_mul_f16_sdwa v180, v166, v22 dst_sel:DWORD dst_unused:UNUSED_PAD src0_sel:DWORD src1_sel:WORD_1
	;; [unrolled: 1-line block ×5, first 2 shown]
	v_fma_f16 v165, v165, v21, v179
	v_fma_f16 v69, v69, v49, -v184
	v_fma_f16 v168, v168, v49, v185
	v_fma_f16 v71, v71, v50, -v186
	;; [unrolled: 2-line block ×3, first 2 shown]
	v_mul_f16_sdwa v54, v156, v48 dst_sel:DWORD dst_unused:UNUSED_PAD src0_sel:DWORD src1_sel:WORD_1
	v_fma_f16 v65, v65, v22, -v180
	v_fma_f16 v166, v166, v22, v181
	v_fma_f16 v67, v67, v23, -v182
	v_fma_f16 v167, v167, v23, v183
	v_fma_f16 v156, v157, v48, v54
	v_add_f16_e32 v54, v61, v71
	v_add_f16_e32 v58, v155, v169
	v_sub_f16_e32 v61, v61, v71
	v_sub_f16_e32 v71, v155, v169
	v_add_f16_e32 v155, v63, v69
	v_add_f16_e32 v157, v165, v168
	v_sub_f16_e32 v63, v63, v69
	v_sub_f16_e32 v69, v165, v168
	;; [unrolled: 4-line block ×4, first 2 shown]
	v_sub_f16_e32 v54, v54, v165
	v_sub_f16_e32 v58, v58, v168
	;; [unrolled: 1-line block ×4, first 2 shown]
	v_add_f16_e32 v180, v65, v63
	v_add_f16_e32 v181, v67, v69
	v_sub_f16_e32 v182, v65, v63
	v_sub_f16_e32 v183, v67, v69
	;; [unrolled: 1-line block ×4, first 2 shown]
	v_add_f16_e32 v165, v165, v166
	v_add_f16_e32 v166, v168, v167
	v_sub_f16_e32 v65, v61, v65
	v_sub_f16_e32 v67, v71, v67
	v_add_f16_e32 v61, v180, v61
	v_add_f16_e32 v71, v181, v71
	;; [unrolled: 1-line block ×3, first 2 shown]
	v_add_f16_sdwa v168, v55, v166 dst_sel:DWORD dst_unused:UNUSED_PAD src0_sel:WORD_1 src1_sel:DWORD
	v_mul_f16_e32 v54, 0x3a52, v54
	v_mul_f16_e32 v55, 0x3a52, v58
	;; [unrolled: 1-line block ×8, first 2 shown]
	v_mul_f16_sdwa v188, v170, v24 dst_sel:DWORD dst_unused:UNUSED_PAD src0_sel:DWORD src1_sel:WORD_1
	v_mul_f16_sdwa v189, v62, v24 dst_sel:DWORD dst_unused:UNUSED_PAD src0_sel:DWORD src1_sel:WORD_1
	;; [unrolled: 1-line block ×8, first 2 shown]
	v_fma_f16 v165, v165, s17, v167
	v_fma_f16 v166, v166, s17, v168
	;; [unrolled: 1-line block ×4, first 2 shown]
	v_fma_f16 v58, v169, s15, -v58
	v_fma_f16 v180, v179, s15, -v180
	;; [unrolled: 1-line block ×4, first 2 shown]
	v_fma_f16 v169, v65, s18, v181
	v_fma_f16 v179, v67, s18, v182
	v_fma_f16 v63, v63, s14, -v181
	v_fma_f16 v69, v69, s14, -v182
	;; [unrolled: 1-line block ×4, first 2 shown]
	v_mul_f16_sdwa v192, v172, v26 dst_sel:DWORD dst_unused:UNUSED_PAD src0_sel:DWORD src1_sel:WORD_1
	v_mul_f16_sdwa v193, v66, v26 dst_sel:DWORD dst_unused:UNUSED_PAD src0_sel:DWORD src1_sel:WORD_1
	;; [unrolled: 1-line block ×4, first 2 shown]
	v_fma_f16 v62, v62, v24, -v188
	v_fma_f16 v170, v170, v24, v189
	v_fma_f16 v64, v64, v25, -v190
	v_fma_f16 v171, v171, v25, v191
	;; [unrolled: 2-line block ×4, first 2 shown]
	v_add_f16_e32 v155, v155, v165
	v_add_f16_e32 v58, v58, v165
	;; [unrolled: 1-line block ×5, first 2 shown]
	v_fma_f16 v165, v61, s20, v169
	v_fma_f16 v63, v61, s20, v63
	;; [unrolled: 1-line block ×5, first 2 shown]
	v_fma_f16 v66, v66, v26, -v192
	v_fma_f16 v172, v172, v26, v193
	v_fma_f16 v68, v68, v27, -v194
	v_fma_f16 v173, v173, v27, v195
	v_add_f16_e32 v181, v65, v54
	v_sub_f16_e32 v182, v55, v61
	v_sub_f16_e32 v183, v58, v69
	v_add_f16_e32 v184, v63, v180
	v_add_f16_e32 v185, v69, v58
	v_sub_f16_e32 v180, v180, v63
	v_sub_f16_e32 v186, v54, v65
	v_add_f16_e32 v187, v61, v55
	v_add_f16_e32 v54, v62, v72
	;; [unrolled: 1-line block ×3, first 2 shown]
	v_sub_f16_e32 v58, v62, v72
	v_add_f16_e32 v62, v64, v70
	v_add_f16_e32 v63, v171, v174
	;; [unrolled: 1-line block ×3, first 2 shown]
	v_fma_f16 v166, v71, s20, v179
	v_sub_f16_e32 v64, v64, v70
	v_sub_f16_e32 v65, v171, v174
	v_add_f16_e32 v67, v66, v68
	v_add_f16_e32 v69, v172, v173
	v_sub_f16_e32 v66, v68, v66
	v_sub_f16_e32 v68, v173, v172
	v_add_f16_e32 v70, v62, v54
	v_add_f16_e32 v71, v63, v55
	;; [unrolled: 1-line block ×3, first 2 shown]
	v_sub_f16_e32 v179, v157, v165
	v_sub_f16_e32 v166, v155, v166
	v_add_f16_e32 v165, v165, v157
	v_sub_f16_e32 v61, v170, v175
	v_sub_f16_e32 v72, v62, v54
	v_sub_f16_e32 v155, v63, v55
	v_sub_f16_e32 v54, v54, v67
	v_sub_f16_e32 v55, v55, v69
	v_sub_f16_e32 v62, v67, v62
	v_sub_f16_e32 v63, v69, v63
	v_add_f16_e32 v157, v66, v64
	v_add_f16_e32 v170, v68, v65
	v_sub_f16_e32 v171, v66, v64
	v_sub_f16_e32 v172, v68, v65
	v_add_f16_e32 v67, v67, v70
	v_add_f16_e32 v69, v69, v71
	v_sub_f16_e32 v66, v58, v66
	v_sub_f16_e32 v68, v61, v68
	;; [unrolled: 1-line block ×4, first 2 shown]
	v_add_f16_e32 v58, v157, v58
	v_add_f16_e32 v61, v170, v61
	;; [unrolled: 1-line block ×3, first 2 shown]
	v_add_f16_sdwa v173, v56, v69 dst_sel:DWORD dst_unused:UNUSED_PAD src0_sel:WORD_1 src1_sel:DWORD
	v_mul_f16_e32 v54, 0x3a52, v54
	v_mul_f16_e32 v55, 0x3a52, v55
	;; [unrolled: 1-line block ×7, first 2 shown]
	v_fma_f16 v67, v67, s17, v170
	v_fma_f16 v69, v69, s17, v173
	;; [unrolled: 1-line block ×4, first 2 shown]
	v_fma_f16 v56, v72, s15, -v56
	v_fma_f16 v54, v72, s16, -v54
	v_fma_f16 v72, v66, s18, v71
	v_fma_f16 v65, v65, s14, -v157
	v_add_f16_e32 v62, v62, v67
	v_add_f16_e32 v63, v63, v69
	;; [unrolled: 1-line block ×4, first 2 shown]
	v_fma_f16 v67, v58, s20, v72
	v_fma_f16 v65, v61, s20, v65
	v_fma_f16 v70, v155, s15, -v70
	v_fma_f16 v55, v155, s16, -v55
	v_fma_f16 v155, v68, s18, v157
	v_fma_f16 v68, v68, s19, -v172
	v_sub_f16_e32 v172, v63, v67
	v_sub_f16_e32 v188, v56, v65
	v_add_f16_e32 v190, v65, v56
	v_add_f16_e32 v195, v67, v63
	;; [unrolled: 1-line block ×3, first 2 shown]
	v_sub_f16_e32 v65, v163, v164
	v_pack_b32_f16 v164, v167, v168
	v_pack_b32_f16 v167, v169, v179
	v_mul_f16_e32 v171, 0x3b00, v64
	ds_write_b32 v73, v167 offset:720
	v_pack_b32_f16 v167, v181, v182
	v_fma_f16 v64, v64, s14, -v71
	v_fma_f16 v66, v66, s19, -v171
	ds_write_b32 v73, v167 offset:1440
	v_pack_b32_f16 v167, v183, v184
	v_fma_f16 v160, v160, v0, v201
	v_add_f16_e32 v70, v70, v69
	v_add_f16_e32 v55, v55, v69
	v_fma_f16 v69, v61, s20, v155
	v_fma_f16 v64, v58, s20, v64
	;; [unrolled: 1-line block ×4, first 2 shown]
	ds_write_b32 v73, v167 offset:2160
	v_pack_b32_f16 v167, v185, v180
	v_pack_b32_f16 v165, v166, v165
	v_add_f16_e32 v171, v69, v62
	v_add_f16_e32 v174, v61, v54
	v_sub_f16_e32 v175, v55, v58
	v_sub_f16_e32 v192, v54, v61
	v_add_f16_e32 v193, v58, v55
	v_add_f16_e32 v54, v176, v60
	;; [unrolled: 1-line block ×3, first 2 shown]
	v_sub_f16_e32 v61, v176, v60
	v_add_f16_e32 v56, v177, v57
	v_add_f16_e32 v60, v59, v161
	ds_write_b32 v73, v167 offset:2880
	v_pack_b32_f16 v167, v186, v187
	ds_write_b32 v73, v165 offset:4320
	v_pack_b32_f16 v165, v170, v173
	v_add_f16_e32 v189, v64, v70
	v_sub_f16_e32 v191, v70, v64
	v_sub_f16_e32 v194, v62, v69
	;; [unrolled: 1-line block ×5, first 2 shown]
	v_add_f16_e32 v59, v162, v178
	v_sub_f16_e32 v64, v178, v162
	v_add_f16_e32 v66, v56, v54
	v_add_f16_e32 v67, v60, v58
	ds_write_b32 v73, v167 offset:3600
	ds_write2_b32 v73, v164, v165 offset1:63
	v_pack_b32_f16 v164, v171, v172
	v_sub_f16_e32 v68, v54, v59
	v_sub_f16_e32 v70, v58, v63
	;; [unrolled: 1-line block ×3, first 2 shown]
	v_add_f16_e32 v69, v64, v62
	v_add_f16_e32 v71, v65, v57
	v_sub_f16_e32 v157, v64, v62
	v_sub_f16_e32 v160, v65, v57
	;; [unrolled: 1-line block ×4, first 2 shown]
	v_add_f16_e32 v66, v59, v66
	v_add_f16_e32 v63, v63, v67
	ds_write_b32 v73, v164 offset:972
	v_pack_b32_f16 v164, v174, v175
	v_sub_f16_e32 v155, v59, v56
	v_add_f16_e32 v162, v69, v61
	v_add_f16_e32 v53, v53, v66
	;; [unrolled: 1-line block ×3, first 2 shown]
	v_mul_f16_e32 v69, 0x3a52, v68
	v_mul_f16_e32 v159, 0x3a52, v70
	;; [unrolled: 1-line block ×4, first 2 shown]
	ds_write_b32 v73, v164 offset:1692
	v_pack_b32_f16 v164, v188, v189
	v_add_f16_e32 v163, v71, v55
	v_fma_f16 v64, v66, s17, v53
	v_fma_f16 v68, v63, s17, v59
	;; [unrolled: 1-line block ×6, first 2 shown]
	ds_write_b32 v73, v164 offset:2412
	v_pack_b32_f16 v164, v190, v191
	v_add_f16_e32 v63, v63, v64
	v_add_f16_e32 v65, v65, v68
	v_fma_f16 v66, v162, s20, v66
	v_fma_f16 v67, v163, s20, v67
	ds_write_b32 v73, v164 offset:3132
	v_pack_b32_f16 v164, v192, v193
	v_sub_f16_e32 v71, v63, v67
	v_add_f16_e32 v72, v66, v65
	ds_write_b32 v73, v164 offset:3852
	v_pack_b32_f16 v164, v194, v195
	ds_write_b32 v73, v164 offset:4572
	s_and_saveexec_b64 s[6:7], s[2:3]
	s_cbranch_execz .LBB0_13
; %bb.12:
	v_mul_f16_e32 v155, 0x2b26, v155
	v_mul_f16_e32 v160, 0xb846, v160
	v_sub_f16_e32 v61, v62, v61
	s_mov_b32 s17, 0xbb00
	v_sub_f16_e32 v58, v60, v58
	v_sub_f16_e32 v54, v56, v54
	v_sub_f16_e32 v55, v57, v55
	v_mul_f16_e32 v156, 0x2b26, v156
	v_mul_f16_e32 v162, 0x370e, v162
	;; [unrolled: 1-line block ×4, first 2 shown]
	v_fma_f16 v62, v61, s17, -v161
	v_fma_f16 v60, v58, s16, -v159
	v_fma_f16 v56, v54, s16, -v69
	v_fma_f16 v57, v55, s17, -v70
	v_fma_f16 v55, v55, s14, -v160
	v_fma_f16 v54, v54, s15, -v155
	v_add_f16_e32 v62, v162, v62
	v_add_f16_e32 v60, v60, v68
	;; [unrolled: 1-line block ×4, first 2 shown]
	v_fma_f16 v58, v58, s15, -v156
	v_fma_f16 v61, v61, s14, -v157
	v_add_f16_e32 v55, v163, v55
	v_add_f16_e32 v54, v54, v64
	;; [unrolled: 1-line block ×3, first 2 shown]
	v_sub_f16_e32 v69, v56, v57
	v_add_f16_e32 v58, v58, v68
	v_add_f16_e32 v61, v162, v61
	;; [unrolled: 1-line block ×3, first 2 shown]
	v_sub_f16_e32 v54, v54, v55
	v_sub_f16_e32 v55, v60, v62
	v_add_f16_e32 v56, v57, v56
	v_sub_f16_e32 v57, v65, v66
	v_add_f16_e32 v60, v67, v63
	s_mov_b32 s14, 0x5040100
	v_sub_f16_e32 v68, v58, v61
	v_add_f16_e32 v58, v61, v58
	v_perm_b32 v53, v59, v53, s14
	v_pack_b32_f16 v57, v60, v57
	v_add_u32_e32 v59, 0x100, v73
	ds_write2_b32 v59, v53, v57 offset0:62 offset1:242
	v_pack_b32_f16 v53, v56, v55
	v_pack_b32_f16 v54, v54, v58
	v_add_u32_e32 v55, 0x700, v73
	ds_write2_b32 v55, v53, v54 offset0:38 offset1:218
	v_pack_b32_f16 v53, v64, v68
	v_pack_b32_f16 v54, v69, v159
	v_add_u32_e32 v55, 0xd00, v73
	ds_write2_b32 v55, v53, v54 offset0:14 offset1:194
	v_perm_b32 v53, v72, v71, s14
	ds_write_b32 v73, v53 offset:4824
.LBB0_13:
	s_or_b64 exec, exec, s[6:7]
	v_lshlrev_b32_e32 v53, 2, v93
	v_mov_b32_e32 v54, s13
	v_add_co_u32_e32 v58, vcc, s12, v53
	v_addc_co_u32_e32 v61, vcc, 0, v54, vcc
	v_add_co_u32_e32 v54, vcc, 0x13b0, v58
	v_addc_co_u32_e32 v55, vcc, 0, v61, vcc
	s_waitcnt lgkmcnt(0)
	; wave barrier
	s_waitcnt lgkmcnt(0)
	global_load_dword v62, v[54:55], off offset:252
	v_add_co_u32_e32 v56, vcc, 0x1000, v58
	v_addc_co_u32_e32 v57, vcc, 0, v61, vcc
	global_load_dword v63, v[56:57], off offset:944
	global_load_dword v64, v[54:55], off offset:2520
	;; [unrolled: 1-line block ×9, first 2 shown]
	s_movk_i32 s6, 0x2000
	ds_read2_b32 v[56:57], v73 offset1:63
	v_add_co_u32_e32 v60, vcc, s6, v58
	global_load_dword v58, v[54:55], off offset:3780
	global_load_dword v156, v[54:55], off offset:4032
	;; [unrolled: 1-line block ×7, first 2 shown]
	v_addc_co_u32_e32 v61, vcc, 0, v61, vcc
	global_load_dword v163, v[60:61], off offset:1132
	global_load_dword v164, v[60:61], off offset:1384
	;; [unrolled: 1-line block ×3, first 2 shown]
	s_waitcnt lgkmcnt(0)
	v_lshrrev_b32_e32 v54, 16, v56
	v_lshrrev_b32_e32 v55, 16, v57
	v_add_u32_e32 v59, 0x800, v73
	v_add_u32_e32 v167, 0xa00, v73
	;; [unrolled: 1-line block ×3, first 2 shown]
	s_waitcnt vmcnt(18)
	v_mul_f16_sdwa v166, v54, v63 dst_sel:DWORD dst_unused:UNUSED_PAD src0_sel:DWORD src1_sel:WORD_1
	v_mul_f16_sdwa v168, v56, v63 dst_sel:DWORD dst_unused:UNUSED_PAD src0_sel:DWORD src1_sel:WORD_1
	;; [unrolled: 1-line block ×4, first 2 shown]
	v_fma_f16 v57, v57, v62, -v60
	v_fma_f16 v60, v55, v62, v61
	v_fma_f16 v55, v56, v63, -v166
	v_fma_f16 v54, v54, v63, v168
	v_pack_b32_f16 v54, v55, v54
	ds_write_b32 v73, v54
	ds_read2_b32 v[54:55], v59 offset0:118 offset1:181
	v_pack_b32_f16 v166, v57, v60
	ds_read2_b32 v[56:57], v73 offset0:126 offset1:189
	ds_read2_b32 v[60:61], v167 offset0:116 offset1:179
	;; [unrolled: 1-line block ×3, first 2 shown]
	s_waitcnt lgkmcnt(3)
	v_lshrrev_b32_e32 v168, 16, v54
	s_waitcnt vmcnt(17)
	v_mul_f16_sdwa v169, v54, v64 dst_sel:DWORD dst_unused:UNUSED_PAD src0_sel:DWORD src1_sel:WORD_1
	v_lshrrev_b32_e32 v170, 16, v55
	s_waitcnt vmcnt(16)
	v_mul_f16_sdwa v171, v55, v65 dst_sel:DWORD dst_unused:UNUSED_PAD src0_sel:DWORD src1_sel:WORD_1
	s_waitcnt lgkmcnt(2)
	v_lshrrev_b32_e32 v172, 16, v56
	s_waitcnt vmcnt(15)
	v_mul_f16_sdwa v173, v56, v66 dst_sel:DWORD dst_unused:UNUSED_PAD src0_sel:DWORD src1_sel:WORD_1
	s_waitcnt lgkmcnt(1)
	v_lshrrev_b32_e32 v174, 16, v60
	v_mul_f16_sdwa v179, v168, v64 dst_sel:DWORD dst_unused:UNUSED_PAD src0_sel:DWORD src1_sel:WORD_1
	v_fma_f16 v168, v168, v64, v169
	v_mul_f16_sdwa v169, v170, v65 dst_sel:DWORD dst_unused:UNUSED_PAD src0_sel:DWORD src1_sel:WORD_1
	v_fma_f16 v170, v170, v65, v171
	v_mul_f16_sdwa v171, v172, v66 dst_sel:DWORD dst_unused:UNUSED_PAD src0_sel:DWORD src1_sel:WORD_1
	s_waitcnt vmcnt(14)
	v_mul_f16_sdwa v175, v60, v67 dst_sel:DWORD dst_unused:UNUSED_PAD src0_sel:DWORD src1_sel:WORD_1
	v_fma_f16 v172, v172, v66, v173
	v_mul_f16_sdwa v173, v174, v67 dst_sel:DWORD dst_unused:UNUSED_PAD src0_sel:DWORD src1_sel:WORD_1
	v_fma_f16 v54, v54, v64, -v179
	v_fma_f16 v55, v55, v65, -v169
	;; [unrolled: 1-line block ×3, first 2 shown]
	v_lshrrev_b32_e32 v176, 16, v57
	s_waitcnt vmcnt(13)
	v_mul_f16_sdwa v177, v57, v68 dst_sel:DWORD dst_unused:UNUSED_PAD src0_sel:DWORD src1_sel:WORD_1
	v_lshrrev_b32_e32 v178, 16, v61
	v_fma_f16 v174, v174, v67, v175
	v_fma_f16 v60, v60, v67, -v173
	v_pack_b32_f16 v65, v54, v168
	v_pack_b32_f16 v54, v55, v170
	;; [unrolled: 1-line block ×3, first 2 shown]
	v_mul_f16_sdwa v175, v176, v68 dst_sel:DWORD dst_unused:UNUSED_PAD src0_sel:DWORD src1_sel:WORD_1
	v_fma_f16 v176, v176, v68, v177
	s_waitcnt vmcnt(12)
	v_mul_f16_sdwa v177, v178, v69 dst_sel:DWORD dst_unused:UNUSED_PAD src0_sel:DWORD src1_sel:WORD_1
	v_pack_b32_f16 v56, v60, v174
	ds_write2_b32 v73, v166, v55 offset0:63 offset1:126
	ds_write2_b32 v59, v54, v56 offset0:181 offset1:244
	v_mul_f16_sdwa v54, v61, v69 dst_sel:DWORD dst_unused:UNUSED_PAD src0_sel:DWORD src1_sel:WORD_1
	v_fma_f16 v64, v61, v69, -v177
	v_fma_f16 v54, v178, v69, v54
	s_waitcnt lgkmcnt(2)
	v_lshrrev_b32_e32 v60, 16, v62
	v_pack_b32_f16 v56, v64, v54
	s_waitcnt vmcnt(11)
	v_mul_f16_sdwa v54, v60, v70 dst_sel:DWORD dst_unused:UNUSED_PAD src0_sel:DWORD src1_sel:WORD_1
	v_add_u32_e32 v168, 0xc00, v73
	v_fma_f16 v61, v62, v70, -v54
	ds_read2_b32 v[54:55], v168 offset0:114 offset1:177
	v_mul_f16_sdwa v62, v62, v70 dst_sel:DWORD dst_unused:UNUSED_PAD src0_sel:DWORD src1_sel:WORD_1
	v_fma_f16 v57, v57, v68, -v175
	v_fma_f16 v60, v60, v70, v62
	v_pack_b32_f16 v57, v57, v176
	v_pack_b32_f16 v60, v61, v60
	ds_write2_b32 v73, v57, v60 offset0:189 offset1:252
	s_waitcnt lgkmcnt(1)
	v_lshrrev_b32_e32 v57, 16, v54
	s_waitcnt vmcnt(10)
	v_mul_f16_sdwa v60, v57, v155 dst_sel:DWORD dst_unused:UNUSED_PAD src0_sel:DWORD src1_sel:WORD_1
	v_fma_f16 v60, v54, v155, -v60
	v_mul_f16_sdwa v54, v54, v155 dst_sel:DWORD dst_unused:UNUSED_PAD src0_sel:DWORD src1_sel:WORD_1
	v_fma_f16 v54, v57, v155, v54
	v_pack_b32_f16 v54, v60, v54
	ds_write2_b32 v168, v56, v54 offset0:51 offset1:114
	v_lshrrev_b32_e32 v54, 16, v63
	s_waitcnt vmcnt(7)
	v_mul_f16_sdwa v56, v54, v157 dst_sel:DWORD dst_unused:UNUSED_PAD src0_sel:DWORD src1_sel:WORD_1
	v_mul_f16_sdwa v57, v63, v157 dst_sel:DWORD dst_unused:UNUSED_PAD src0_sel:DWORD src1_sel:WORD_1
	v_fma_f16 v56, v63, v157, -v56
	v_fma_f16 v54, v54, v157, v57
	v_add_u32_e32 v70, 0x400, v73
	v_pack_b32_f16 v60, v56, v54
	ds_read2_b32 v[56:57], v70 offset0:122 offset1:185
	v_lshrrev_b32_e32 v54, 16, v55
	v_mul_f16_sdwa v61, v54, v58 dst_sel:DWORD dst_unused:UNUSED_PAD src0_sel:DWORD src1_sel:WORD_1
	v_fma_f16 v61, v55, v58, -v61
	v_mul_f16_sdwa v55, v55, v58 dst_sel:DWORD dst_unused:UNUSED_PAD src0_sel:DWORD src1_sel:WORD_1
	v_fma_f16 v54, v54, v58, v55
	v_pack_b32_f16 v58, v61, v54
	s_waitcnt lgkmcnt(0)
	v_lshrrev_b32_e32 v61, 16, v56
	s_waitcnt vmcnt(6)
	v_mul_f16_sdwa v54, v61, v159 dst_sel:DWORD dst_unused:UNUSED_PAD src0_sel:DWORD src1_sel:WORD_1
	v_add_u32_e32 v169, 0xe00, v73
	v_fma_f16 v62, v56, v159, -v54
	ds_read2_b32 v[54:55], v169 offset0:112 offset1:175
	v_mul_f16_sdwa v56, v56, v159 dst_sel:DWORD dst_unused:UNUSED_PAD src0_sel:DWORD src1_sel:WORD_1
	v_fma_f16 v56, v61, v159, v56
	v_pack_b32_f16 v56, v62, v56
	ds_write2_b32 v70, v60, v56 offset0:59 offset1:122
	s_waitcnt lgkmcnt(1)
	v_lshrrev_b32_e32 v56, 16, v54
	v_mul_f16_sdwa v60, v56, v156 dst_sel:DWORD dst_unused:UNUSED_PAD src0_sel:DWORD src1_sel:WORD_1
	v_fma_f16 v60, v54, v156, -v60
	v_mul_f16_sdwa v54, v54, v156 dst_sel:DWORD dst_unused:UNUSED_PAD src0_sel:DWORD src1_sel:WORD_1
	v_fma_f16 v54, v56, v156, v54
	v_pack_b32_f16 v54, v60, v54
	ds_write2_b32 v168, v58, v54 offset0:177 offset1:240
	v_lshrrev_b32_e32 v54, 16, v57
	s_waitcnt vmcnt(5)
	v_mul_f16_sdwa v56, v54, v160 dst_sel:DWORD dst_unused:UNUSED_PAD src0_sel:DWORD src1_sel:WORD_1
	v_fma_f16 v56, v57, v160, -v56
	v_mul_f16_sdwa v57, v57, v160 dst_sel:DWORD dst_unused:UNUSED_PAD src0_sel:DWORD src1_sel:WORD_1
	v_fma_f16 v54, v54, v160, v57
	v_add_u32_e32 v170, 0x600, v73
	v_pack_b32_f16 v58, v56, v54
	ds_read2_b32 v[56:57], v170 offset0:120 offset1:183
	v_lshrrev_b32_e32 v54, 16, v55
	s_waitcnt vmcnt(2)
	v_mul_f16_sdwa v60, v54, v163 dst_sel:DWORD dst_unused:UNUSED_PAD src0_sel:DWORD src1_sel:WORD_1
	v_fma_f16 v60, v55, v163, -v60
	v_mul_f16_sdwa v55, v55, v163 dst_sel:DWORD dst_unused:UNUSED_PAD src0_sel:DWORD src1_sel:WORD_1
	v_fma_f16 v54, v54, v163, v55
	s_waitcnt lgkmcnt(0)
	v_lshrrev_b32_e32 v61, 16, v56
	v_pack_b32_f16 v60, v60, v54
	v_mul_f16_sdwa v54, v61, v161 dst_sel:DWORD dst_unused:UNUSED_PAD src0_sel:DWORD src1_sel:WORD_1
	v_add_u32_e32 v171, 0x1000, v73
	v_fma_f16 v62, v56, v161, -v54
	ds_read2_b32 v[54:55], v171 offset0:110 offset1:173
	v_mul_f16_sdwa v56, v56, v161 dst_sel:DWORD dst_unused:UNUSED_PAD src0_sel:DWORD src1_sel:WORD_1
	v_fma_f16 v56, v61, v161, v56
	v_pack_b32_f16 v56, v62, v56
	ds_write2_b32 v70, v58, v56 offset0:185 offset1:248
	s_waitcnt lgkmcnt(1)
	v_lshrrev_b32_e32 v56, 16, v54
	s_waitcnt vmcnt(1)
	v_mul_f16_sdwa v58, v56, v164 dst_sel:DWORD dst_unused:UNUSED_PAD src0_sel:DWORD src1_sel:WORD_1
	v_fma_f16 v58, v54, v164, -v58
	v_mul_f16_sdwa v54, v54, v164 dst_sel:DWORD dst_unused:UNUSED_PAD src0_sel:DWORD src1_sel:WORD_1
	v_fma_f16 v54, v56, v164, v54
	v_pack_b32_f16 v54, v58, v54
	ds_write2_b32 v171, v60, v54 offset0:47 offset1:110
	v_lshrrev_b32_e32 v54, 16, v57
	v_mul_f16_sdwa v56, v54, v162 dst_sel:DWORD dst_unused:UNUSED_PAD src0_sel:DWORD src1_sel:WORD_1
	v_fma_f16 v56, v57, v162, -v56
	v_mul_f16_sdwa v57, v57, v162 dst_sel:DWORD dst_unused:UNUSED_PAD src0_sel:DWORD src1_sel:WORD_1
	v_fma_f16 v54, v54, v162, v57
	v_pack_b32_f16 v54, v56, v54
	ds_write2_b32 v59, v54, v65 offset0:55 offset1:118
	v_lshrrev_b32_e32 v54, 16, v55
	s_waitcnt vmcnt(0)
	v_mul_f16_sdwa v56, v54, v165 dst_sel:DWORD dst_unused:UNUSED_PAD src0_sel:DWORD src1_sel:WORD_1
	v_fma_f16 v56, v55, v165, -v56
	v_mul_f16_sdwa v55, v55, v165 dst_sel:DWORD dst_unused:UNUSED_PAD src0_sel:DWORD src1_sel:WORD_1
	v_fma_f16 v54, v54, v165, v55
	v_pack_b32_f16 v54, v56, v54
	ds_write_b32 v73, v54 offset:4788
	s_waitcnt lgkmcnt(0)
	; wave barrier
	s_waitcnt lgkmcnt(0)
	ds_read2_b32 v[54:55], v73 offset1:63
	ds_read2_b32 v[56:57], v59 offset0:118 offset1:181
	ds_read2_b32 v[62:63], v73 offset0:126 offset1:189
	ds_read2_b32 v[64:65], v167 offset0:116 offset1:179
	s_waitcnt lgkmcnt(2)
	v_pk_add_f16 v61, v54, v56 neg_lo:[0,1] neg_hi:[0,1]
	v_pk_add_f16 v56, v55, v57 neg_lo:[0,1] neg_hi:[0,1]
	ds_read2_b32 v[57:58], v53 offset0:124 offset1:187
	ds_read2_b32 v[66:67], v168 offset0:114 offset1:177
	s_waitcnt lgkmcnt(2)
	v_pk_add_f16 v69, v62, v64 neg_lo:[0,1] neg_hi:[0,1]
	v_pk_add_f16 v64, v63, v65 neg_lo:[0,1] neg_hi:[0,1]
	ds_read2_b32 v[155:156], v70 offset0:122 offset1:185
	ds_read2_b32 v[159:160], v169 offset0:112 offset1:175
	v_pk_fma_f16 v60, v54, 2.0, v61 op_sel_hi:[1,0,1] neg_lo:[0,0,1] neg_hi:[0,0,1]
	s_waitcnt lgkmcnt(2)
	v_pk_add_f16 v66, v57, v66 neg_lo:[0,1] neg_hi:[0,1]
	v_pk_add_f16 v162, v58, v67 neg_lo:[0,1] neg_hi:[0,1]
	v_pk_fma_f16 v65, v57, 2.0, v66 op_sel_hi:[1,0,1] neg_lo:[0,0,1] neg_hi:[0,0,1]
	v_pk_fma_f16 v161, v58, 2.0, v162 op_sel_hi:[1,0,1] neg_lo:[0,0,1] neg_hi:[0,0,1]
	ds_read2_b32 v[57:58], v170 offset0:120 offset1:183
	ds_read2_b32 v[163:164], v171 offset0:110 offset1:173
	v_pk_fma_f16 v55, v55, 2.0, v56 op_sel_hi:[1,0,1] neg_lo:[0,0,1] neg_hi:[0,0,1]
	s_waitcnt lgkmcnt(2)
	v_pk_add_f16 v166, v155, v159 neg_lo:[0,1] neg_hi:[0,1]
	v_pk_add_f16 v157, v156, v160 neg_lo:[0,1] neg_hi:[0,1]
	v_pk_fma_f16 v68, v62, 2.0, v69 op_sel_hi:[1,0,1] neg_lo:[0,0,1] neg_hi:[0,0,1]
	s_waitcnt lgkmcnt(0)
	v_pk_add_f16 v160, v57, v163 neg_lo:[0,1] neg_hi:[0,1]
	v_pk_add_f16 v164, v58, v164 neg_lo:[0,1] neg_hi:[0,1]
	v_pk_fma_f16 v63, v63, 2.0, v64 op_sel_hi:[1,0,1] neg_lo:[0,0,1] neg_hi:[0,0,1]
	v_pk_fma_f16 v165, v155, 2.0, v166 op_sel_hi:[1,0,1] neg_lo:[0,0,1] neg_hi:[0,0,1]
	;; [unrolled: 1-line block ×5, first 2 shown]
	s_waitcnt lgkmcnt(0)
	; wave barrier
	ds_write_b64 v96, v[60:61]
	ds_write_b64 v102, v[55:56]
	;; [unrolled: 1-line block ×10, first 2 shown]
	s_waitcnt lgkmcnt(0)
	; wave barrier
	s_waitcnt lgkmcnt(0)
	ds_read2_b32 v[54:55], v73 offset1:63
	ds_read2_b32 v[56:57], v59 offset0:118 offset1:181
	ds_read2_b32 v[62:63], v167 offset0:116 offset1:179
	;; [unrolled: 1-line block ×5, first 2 shown]
	s_waitcnt lgkmcnt(4)
	v_lshrrev_b32_e32 v102, 16, v56
	v_mul_f16_sdwa v174, v95, v102 dst_sel:DWORD dst_unused:UNUSED_PAD src0_sel:WORD_1 src1_sel:DWORD
	v_lshrrev_b32_e32 v154, 16, v57
	v_fma_f16 v174, v95, v56, v174
	v_mul_f16_sdwa v56, v95, v56 dst_sel:DWORD dst_unused:UNUSED_PAD src0_sel:WORD_1 src1_sel:DWORD
	ds_read2_b32 v[64:65], v53 offset0:124 offset1:187
	ds_read2_b32 v[68:69], v70 offset0:122 offset1:185
	;; [unrolled: 1-line block ×4, first 2 shown]
	v_fma_f16 v56, v95, v102, -v56
	v_mul_f16_sdwa v102, v107, v154 dst_sel:DWORD dst_unused:UNUSED_PAD src0_sel:WORD_1 src1_sel:DWORD
	s_waitcnt lgkmcnt(7)
	v_lshrrev_b32_e32 v158, 16, v63
	v_fma_f16 v102, v114, v57, v102
	v_mul_f16_sdwa v57, v107, v57 dst_sel:DWORD dst_unused:UNUSED_PAD src0_sel:WORD_1 src1_sel:DWORD
	s_waitcnt lgkmcnt(6)
	v_lshrrev_b32_e32 v162, 16, v67
	v_fma_f16 v57, v114, v154, -v57
	v_mul_f16_e32 v154, v112, v158
	s_waitcnt lgkmcnt(5)
	v_lshrrev_b32_e32 v166, 16, v97
	v_fma_f16 v154, v109, v63, v154
	v_mul_f16_e32 v63, v112, v63
	v_mul_f16_e32 v112, v104, v162
	v_fma_f16 v112, v103, v67, v112
	v_mul_f16_e32 v67, v104, v67
	v_mul_f16_e32 v104, v115, v166
	v_lshrrev_b32_e32 v156, 16, v62
	v_lshrrev_b32_e32 v160, 16, v66
	;; [unrolled: 1-line block ×3, first 2 shown]
	s_waitcnt lgkmcnt(0)
	v_lshrrev_b32_e32 v170, 16, v100
	v_fma_f16 v104, v113, v97, v104
	v_mul_f16_e32 v97, v115, v97
	v_mul_f16_sdwa v114, v95, v156 dst_sel:DWORD dst_unused:UNUSED_PAD src0_sel:WORD_1 src1_sel:DWORD
	v_fma_f16 v63, v109, v158, -v63
	v_mul_f16_sdwa v109, v95, v160 dst_sel:DWORD dst_unused:UNUSED_PAD src0_sel:WORD_1 src1_sel:DWORD
	v_fma_f16 v67, v103, v162, -v67
	v_mul_f16_sdwa v103, v95, v164 dst_sel:DWORD dst_unused:UNUSED_PAD src0_sel:WORD_1 src1_sel:DWORD
	v_fma_f16 v97, v113, v166, -v97
	v_mul_f16_sdwa v113, v95, v170 dst_sel:DWORD dst_unused:UNUSED_PAD src0_sel:WORD_1 src1_sel:DWORD
	v_lshrrev_b32_e32 v173, 16, v101
	v_fma_f16 v114, v95, v62, v114
	v_mul_f16_sdwa v62, v95, v62 dst_sel:DWORD dst_unused:UNUSED_PAD src0_sel:WORD_1 src1_sel:DWORD
	v_fma_f16 v109, v95, v66, v109
	v_mul_f16_sdwa v66, v95, v66 dst_sel:DWORD dst_unused:UNUSED_PAD src0_sel:WORD_1 src1_sel:DWORD
	;; [unrolled: 2-line block ×4, first 2 shown]
	v_lshrrev_b32_e32 v58, 16, v54
	v_fma_f16 v62, v95, v156, -v62
	v_fma_f16 v66, v95, v160, -v66
	;; [unrolled: 1-line block ×4, first 2 shown]
	v_mul_f16_e32 v100, v105, v173
	v_lshrrev_b32_e32 v153, 16, v55
	v_fma_f16 v100, v107, v101, v100
	v_mul_f16_e32 v101, v105, v101
	v_sub_f16_e32 v105, v54, v174
	v_sub_f16_e32 v56, v58, v56
	v_lshrrev_b32_e32 v155, 16, v60
	v_fma_f16 v54, v54, 2.0, -v105
	v_fma_f16 v58, v58, 2.0, -v56
	v_sub_f16_e32 v102, v55, v102
	v_sub_f16_e32 v57, v153, v57
	v_lshrrev_b32_e32 v157, 16, v61
	v_fma_f16 v101, v107, v173, -v101
	v_fma_f16 v55, v55, 2.0, -v102
	v_fma_f16 v107, v153, 2.0, -v57
	v_sub_f16_e32 v114, v60, v114
	v_sub_f16_e32 v62, v155, v62
	v_pack_b32_f16 v54, v54, v58
	v_pack_b32_f16 v56, v105, v56
	v_lshrrev_b32_e32 v159, 16, v64
	v_fma_f16 v60, v60, 2.0, -v114
	v_fma_f16 v115, v155, 2.0, -v62
	v_sub_f16_e32 v153, v61, v154
	v_sub_f16_e32 v63, v157, v63
	s_waitcnt lgkmcnt(0)
	; wave barrier
	ds_write2_b32 v106, v54, v56 offset1:2
	v_pack_b32_f16 v54, v55, v107
	v_pack_b32_f16 v55, v102, v57
	v_lshrrev_b32_e32 v161, 16, v65
	v_fma_f16 v61, v61, 2.0, -v153
	v_fma_f16 v154, v157, 2.0, -v63
	v_sub_f16_e32 v109, v64, v109
	v_sub_f16_e32 v66, v159, v66
	ds_write2_b32 v108, v54, v55 offset1:2
	v_pack_b32_f16 v54, v60, v115
	v_pack_b32_f16 v55, v114, v62
	v_lshrrev_b32_e32 v163, 16, v68
	v_fma_f16 v64, v64, 2.0, -v109
	v_fma_f16 v155, v159, 2.0, -v66
	v_sub_f16_e32 v112, v65, v112
	v_sub_f16_e32 v67, v161, v67
	;; [unrolled: 8-line block ×5, first 2 shown]
	ds_write2_b32 v118, v54, v55 offset1:2
	v_pack_b32_f16 v54, v68, v158
	v_pack_b32_f16 v55, v103, v157
	v_fma_f16 v162, v98, 2.0, -v113
	v_fma_f16 v163, v167, 2.0, -v161
	v_sub_f16_e32 v97, v99, v100
	v_sub_f16_e32 v98, v172, v101
	ds_write2_b32 v119, v54, v55 offset1:2
	v_pack_b32_f16 v54, v69, v160
	v_pack_b32_f16 v55, v104, v159
	v_fma_f16 v95, v99, 2.0, -v97
	v_fma_f16 v96, v172, 2.0, -v98
	ds_write2_b32 v120, v54, v55 offset1:2
	v_pack_b32_f16 v54, v162, v163
	v_pack_b32_f16 v55, v113, v161
	ds_write2_b32 v121, v54, v55 offset1:2
	v_pack_b32_f16 v54, v95, v96
	v_pack_b32_f16 v55, v97, v98
	ds_write2_b32 v122, v54, v55 offset1:2
	s_waitcnt lgkmcnt(0)
	; wave barrier
	s_waitcnt lgkmcnt(0)
	ds_read2_b32 v[57:58], v73 offset1:63
	ds_read2_b32 v[69:70], v70 offset0:164 offset1:227
	ds_read2_b32 v[67:68], v168 offset0:72 offset1:135
	;; [unrolled: 1-line block ×8, first 2 shown]
	s_and_saveexec_b64 s[6:7], s[0:1]
	s_cbranch_execz .LBB0_15
; %bb.14:
	ds_read_b32 v95, v73 offset:1512
	ds_read_b32 v97, v73 offset:3192
	ds_read_b32 v71, v73 offset:4872
	s_waitcnt lgkmcnt(2)
	v_lshrrev_b32_e32 v96, 16, v95
	s_waitcnt lgkmcnt(1)
	v_lshrrev_b32_e32 v98, 16, v97
	;; [unrolled: 2-line block ×3, first 2 shown]
.LBB0_15:
	s_or_b64 exec, exec, s[6:7]
	s_waitcnt lgkmcnt(7)
	v_lshrrev_b32_e32 v100, 16, v69
	v_mul_f16_sdwa v118, v29, v100 dst_sel:DWORD dst_unused:UNUSED_PAD src0_sel:WORD_1 src1_sel:DWORD
	s_waitcnt lgkmcnt(6)
	v_lshrrev_b32_e32 v101, 16, v67
	v_fma_f16 v118, v29, v69, v118
	v_mul_f16_sdwa v69, v29, v69 dst_sel:DWORD dst_unused:UNUSED_PAD src0_sel:WORD_1 src1_sel:DWORD
	v_fma_f16 v69, v29, v100, -v69
	v_mul_f16_sdwa v100, v30, v101 dst_sel:DWORD dst_unused:UNUSED_PAD src0_sel:WORD_1 src1_sel:DWORD
	v_lshrrev_b32_e32 v103, 16, v70
	v_fma_f16 v100, v30, v67, v100
	v_mul_f16_sdwa v67, v30, v67 dst_sel:DWORD dst_unused:UNUSED_PAD src0_sel:WORD_1 src1_sel:DWORD
	v_fma_f16 v67, v30, v101, -v67
	v_mul_f16_sdwa v101, v123, v103 dst_sel:DWORD dst_unused:UNUSED_PAD src0_sel:WORD_1 src1_sel:DWORD
	;; [unrolled: 5-line block ×3, first 2 shown]
	s_waitcnt lgkmcnt(4)
	v_lshrrev_b32_e32 v106, 16, v65
	v_fma_f16 v103, v134, v68, v103
	v_mul_f16_sdwa v68, v124, v68 dst_sel:DWORD dst_unused:UNUSED_PAD src0_sel:WORD_1 src1_sel:DWORD
	v_fma_f16 v68, v134, v104, -v68
	v_mul_f16_sdwa v104, v125, v106 dst_sel:DWORD dst_unused:UNUSED_PAD src0_sel:WORD_1 src1_sel:DWORD
	s_waitcnt lgkmcnt(3)
	v_lshrrev_b32_e32 v107, 16, v63
	v_fma_f16 v104, v129, v65, v104
	v_mul_f16_sdwa v65, v125, v65 dst_sel:DWORD dst_unused:UNUSED_PAD src0_sel:WORD_1 src1_sel:DWORD
	v_fma_f16 v65, v129, v106, -v65
	v_mul_f16_sdwa v106, v127, v107 dst_sel:DWORD dst_unused:UNUSED_PAD src0_sel:WORD_1 src1_sel:DWORD
	v_lshrrev_b32_e32 v109, 16, v66
	v_fma_f16 v106, v133, v63, v106
	v_mul_f16_sdwa v63, v127, v63 dst_sel:DWORD dst_unused:UNUSED_PAD src0_sel:WORD_1 src1_sel:DWORD
	v_fma_f16 v63, v133, v107, -v63
	v_mul_f16_sdwa v107, v31, v109 dst_sel:DWORD dst_unused:UNUSED_PAD src0_sel:WORD_1 src1_sel:DWORD
	;; [unrolled: 5-line block ×3, first 2 shown]
	v_fma_f16 v66, v32, v64, v66
	v_mul_f16_sdwa v64, v32, v64 dst_sel:DWORD dst_unused:UNUSED_PAD src0_sel:WORD_1 src1_sel:DWORD
	v_fma_f16 v32, v32, v111, -v64
	v_mul_f16_e32 v111, v128, v98
	s_waitcnt lgkmcnt(1)
	v_lshrrev_b32_e32 v113, 16, v61
	v_fma_f16 v111, v125, v97, v111
	v_mul_f16_e32 v97, v128, v97
	v_mul_f16_sdwa v64, v29, v113 dst_sel:DWORD dst_unused:UNUSED_PAD src0_sel:WORD_1 src1_sel:DWORD
	v_fma_f16 v97, v125, v98, -v97
	v_mul_f16_e32 v98, v132, v72
	s_waitcnt lgkmcnt(0)
	v_lshrrev_b32_e32 v114, 16, v59
	v_fma_f16 v64, v29, v61, v64
	v_mul_f16_sdwa v61, v29, v61 dst_sel:DWORD dst_unused:UNUSED_PAD src0_sel:WORD_1 src1_sel:DWORD
	v_fma_f16 v98, v127, v71, v98
	v_mul_f16_e32 v71, v132, v71
	v_fma_f16 v29, v29, v113, -v61
	v_mul_f16_sdwa v61, v30, v114 dst_sel:DWORD dst_unused:UNUSED_PAD src0_sel:WORD_1 src1_sel:DWORD
	v_fma_f16 v71, v127, v72, -v71
	v_add_f16_e32 v72, v57, v118
	v_lshrrev_b32_e32 v116, 16, v62
	v_fma_f16 v61, v30, v59, v61
	v_mul_f16_sdwa v59, v30, v59 dst_sel:DWORD dst_unused:UNUSED_PAD src0_sel:WORD_1 src1_sel:DWORD
	v_add_f16_e32 v113, v72, v100
	v_add_f16_e32 v72, v118, v100
	v_lshrrev_b32_e32 v99, 16, v57
	v_fma_f16 v30, v30, v114, -v59
	v_mul_f16_e32 v59, v126, v116
	v_fma_f16 v57, v72, -0.5, v57
	v_sub_f16_e32 v72, v69, v67
	s_mov_b32 s6, 0xbaee
	s_movk_i32 s7, 0x3aee
	v_fma_f16 v59, v123, v62, v59
	v_mul_f16_e32 v62, v126, v62
	v_fma_f16 v114, v72, s6, v57
	v_fma_f16 v57, v72, s7, v57
	v_add_f16_e32 v72, v99, v69
	v_lshrrev_b32_e32 v117, 16, v60
	v_fma_f16 v62, v123, v116, -v62
	v_add_f16_e32 v116, v72, v67
	v_add_f16_e32 v67, v69, v67
	v_mul_f16_e32 v109, v131, v117
	v_fma_f16 v67, v67, -0.5, v99
	v_sub_f16_e32 v69, v118, v100
	v_fma_f16 v109, v124, v60, v109
	v_mul_f16_e32 v60, v131, v60
	v_fma_f16 v99, v69, s7, v67
	v_fma_f16 v100, v69, s6, v67
	v_add_f16_e32 v67, v58, v101
	v_fma_f16 v60, v124, v117, -v60
	v_add_f16_e32 v117, v67, v103
	v_add_f16_e32 v67, v101, v103
	v_lshrrev_b32_e32 v102, 16, v58
	v_fma_f16 v58, v67, -0.5, v58
	v_sub_f16_e32 v67, v70, v68
	v_fma_f16 v118, v67, s6, v58
	v_fma_f16 v58, v67, s7, v58
	v_add_f16_e32 v67, v102, v70
	v_add_f16_e32 v119, v67, v68
	;; [unrolled: 1-line block ×3, first 2 shown]
	v_fma_f16 v67, v67, -0.5, v102
	v_sub_f16_e32 v68, v101, v103
	v_fma_f16 v101, v68, s7, v67
	v_fma_f16 v102, v68, s6, v67
	v_add_f16_e32 v67, v55, v104
	v_add_f16_e32 v103, v67, v106
	;; [unrolled: 1-line block ×3, first 2 shown]
	v_lshrrev_b32_e32 v105, 16, v55
	v_fma_f16 v55, v67, -0.5, v55
	v_sub_f16_e32 v67, v65, v63
	v_fma_f16 v120, v67, s6, v55
	v_fma_f16 v55, v67, s7, v55
	v_add_f16_e32 v67, v105, v65
	v_add_f16_e32 v121, v67, v63
	;; [unrolled: 1-line block ×3, first 2 shown]
	v_fma_f16 v63, v63, -0.5, v105
	v_sub_f16_e32 v65, v104, v106
	v_add_f16_e32 v67, v107, v66
	v_lshrrev_b32_e32 v108, 16, v56
	v_fma_f16 v104, v65, s7, v63
	v_fma_f16 v63, v65, s6, v63
	v_add_f16_e32 v65, v56, v107
	v_fma_f16 v56, v67, -0.5, v56
	v_sub_f16_e32 v67, v31, v32
	v_fma_f16 v105, v67, s6, v56
	v_fma_f16 v56, v67, s7, v56
	v_add_f16_e32 v67, v108, v31
	v_add_f16_e32 v31, v31, v32
	v_add_f16_e32 v106, v67, v32
	v_fma_f16 v31, v31, -0.5, v108
	v_sub_f16_e32 v32, v107, v66
	v_add_f16_e32 v67, v64, v61
	v_lshrrev_b32_e32 v112, 16, v53
	v_add_f16_e32 v65, v65, v66
	v_fma_f16 v66, v32, s7, v31
	v_fma_f16 v31, v32, s6, v31
	v_add_f16_e32 v32, v53, v64
	v_fma_f16 v53, v67, -0.5, v53
	v_sub_f16_e32 v67, v29, v30
	v_fma_f16 v107, v67, s6, v53
	v_fma_f16 v53, v67, s7, v53
	v_add_f16_e32 v67, v112, v29
	v_add_f16_e32 v29, v29, v30
	;; [unrolled: 1-line block ×3, first 2 shown]
	v_fma_f16 v29, v29, -0.5, v112
	v_sub_f16_e32 v30, v64, v61
	v_add_f16_e32 v64, v59, v109
	v_lshrrev_b32_e32 v115, 16, v54
	v_add_f16_e32 v32, v32, v61
	v_fma_f16 v61, v30, s7, v29
	v_fma_f16 v29, v30, s6, v29
	v_add_f16_e32 v30, v54, v59
	v_fma_f16 v54, v64, -0.5, v54
	v_sub_f16_e32 v64, v62, v60
	v_fma_f16 v112, v64, s6, v54
	v_fma_f16 v54, v64, s7, v54
	v_add_f16_e32 v64, v115, v62
	v_add_f16_e32 v64, v64, v60
	v_add_f16_e32 v60, v62, v60
	v_fma_f16 v60, v60, -0.5, v115
	v_sub_f16_e32 v59, v59, v109
	v_fma_f16 v62, v59, s7, v60
	v_fma_f16 v59, v59, s6, v60
	v_add_f16_e32 v60, v95, v111
	v_add_f16_e32 v67, v98, v60
	;; [unrolled: 7-line block ×3, first 2 shown]
	v_add_f16_e32 v60, v71, v97
	v_fma_f16 v60, v60, -0.5, v96
	v_sub_f16_e32 v71, v111, v98
	v_fma_f16 v72, v71, s7, v60
	v_fma_f16 v71, v71, s6, v60
	v_pack_b32_f16 v60, v113, v116
	v_pack_b32_f16 v95, v114, v99
	;; [unrolled: 1-line block ×3, first 2 shown]
	s_waitcnt lgkmcnt(0)
	; wave barrier
	ds_write2_b32 v135, v60, v95 offset1:4
	ds_write_b32 v135, v57 offset:32
	v_pack_b32_f16 v57, v117, v119
	v_pack_b32_f16 v60, v118, v101
	ds_write2_b32 v136, v57, v60 offset1:4
	v_pack_b32_f16 v57, v58, v102
	ds_write_b32 v136, v57 offset:32
	v_pack_b32_f16 v57, v103, v121
	v_pack_b32_f16 v58, v120, v104
	;; [unrolled: 1-line block ×3, first 2 shown]
	v_add_f16_e32 v30, v30, v109
	ds_write2_b32 v137, v57, v58 offset1:4
	ds_write_b32 v137, v55 offset:32
	v_pack_b32_f16 v55, v65, v106
	v_pack_b32_f16 v57, v105, v66
	;; [unrolled: 1-line block ×4, first 2 shown]
	ds_write2_b32 v138, v55, v57 offset1:4
	ds_write_b32 v138, v31 offset:32
	v_pack_b32_f16 v31, v32, v108
	v_pack_b32_f16 v32, v107, v61
	ds_write_b32 v139, v29 offset:32
	v_pack_b32_f16 v29, v30, v64
	v_pack_b32_f16 v30, v112, v62
	ds_write2_b32 v139, v31, v32 offset1:4
	ds_write2_b32 v141, v29, v30 offset1:4
	v_pack_b32_f16 v29, v54, v59
	ds_write_b32 v141, v29 offset:32
	s_and_saveexec_b64 s[6:7], s[0:1]
	s_cbranch_execz .LBB0_17
; %bb.16:
	v_mul_u32_u24_e32 v29, 12, v140
	v_or_b32_e32 v29, v29, v110
	s_mov_b32 s12, 0x5040100
	v_lshlrev_b32_e32 v29, 2, v29
	v_perm_b32 v30, v68, v67, s12
	v_perm_b32 v31, v72, v69, s12
	ds_write2_b32 v29, v30, v31 offset1:4
	v_perm_b32 v30, v71, v70, s12
	ds_write_b32 v29, v30 offset:32
.LBB0_17:
	s_or_b64 exec, exec, s[6:7]
	v_add_u32_e32 v29, 0x400, v73
	s_waitcnt lgkmcnt(0)
	; wave barrier
	s_waitcnt lgkmcnt(0)
	ds_read2_b32 v[63:64], v29 offset0:164 offset1:227
	v_add_u32_e32 v29, 0xc00, v73
	ds_read2_b32 v[53:54], v73 offset1:63
	ds_read2_b32 v[65:66], v29 offset0:72 offset1:135
	ds_read2_b32 v[31:32], v73 offset0:126 offset1:189
	v_add_u32_e32 v29, 0xe00, v73
	v_add_u32_e32 v55, 0x800, v73
	ds_read2_b32 v[61:62], v29 offset0:70 offset1:133
	v_add_u32_e32 v29, 0x200, v73
	v_add_u32_e32 v57, 0x1000, v73
	ds_read2_b32 v[59:60], v55 offset0:34 offset1:97
	ds_read2_b32 v[29:30], v29 offset0:124 offset1:187
	;; [unrolled: 1-line block ×4, first 2 shown]
	s_and_saveexec_b64 s[6:7], s[0:1]
	s_cbranch_execz .LBB0_19
; %bb.18:
	ds_read_b32 v67, v73 offset:1512
	ds_read_b32 v69, v73 offset:3192
	;; [unrolled: 1-line block ×3, first 2 shown]
	s_waitcnt lgkmcnt(2)
	v_lshrrev_b32_e32 v68, 16, v67
	s_waitcnt lgkmcnt(1)
	v_lshrrev_b32_e32 v72, 16, v69
	;; [unrolled: 2-line block ×3, first 2 shown]
.LBB0_19:
	s_or_b64 exec, exec, s[6:7]
	s_waitcnt lgkmcnt(8)
	v_lshrrev_b32_e32 v96, 16, v63
	v_mul_f16_sdwa v113, v33, v96 dst_sel:DWORD dst_unused:UNUSED_PAD src0_sel:WORD_1 src1_sel:DWORD
	s_waitcnt lgkmcnt(6)
	v_lshrrev_b32_e32 v97, 16, v65
	v_fma_f16 v113, v33, v63, v113
	v_mul_f16_sdwa v63, v33, v63 dst_sel:DWORD dst_unused:UNUSED_PAD src0_sel:WORD_1 src1_sel:DWORD
	v_fma_f16 v33, v33, v96, -v63
	v_mul_f16_sdwa v63, v34, v97 dst_sel:DWORD dst_unused:UNUSED_PAD src0_sel:WORD_1 src1_sel:DWORD
	v_lshrrev_b32_e32 v99, 16, v64
	v_fma_f16 v63, v34, v65, v63
	v_mul_f16_sdwa v65, v34, v65 dst_sel:DWORD dst_unused:UNUSED_PAD src0_sel:WORD_1 src1_sel:DWORD
	v_fma_f16 v34, v34, v97, -v65
	v_mul_f16_sdwa v65, v35, v99 dst_sel:DWORD dst_unused:UNUSED_PAD src0_sel:WORD_1 src1_sel:DWORD
	;; [unrolled: 5-line block ×3, first 2 shown]
	s_waitcnt lgkmcnt(3)
	v_lshrrev_b32_e32 v102, 16, v59
	v_fma_f16 v96, v36, v66, v35
	v_mul_f16_sdwa v35, v36, v66 dst_sel:DWORD dst_unused:UNUSED_PAD src0_sel:WORD_1 src1_sel:DWORD
	v_fma_f16 v66, v36, v100, -v35
	v_mul_f16_sdwa v35, v39, v102 dst_sel:DWORD dst_unused:UNUSED_PAD src0_sel:WORD_1 src1_sel:DWORD
	v_lshrrev_b32_e32 v103, 16, v61
	v_fma_f16 v97, v39, v59, v35
	v_mul_f16_sdwa v35, v39, v59 dst_sel:DWORD dst_unused:UNUSED_PAD src0_sel:WORD_1 src1_sel:DWORD
	v_fma_f16 v39, v39, v102, -v35
	v_mul_f16_sdwa v35, v40, v103 dst_sel:DWORD dst_unused:UNUSED_PAD src0_sel:WORD_1 src1_sel:DWORD
	;; [unrolled: 5-line block ×4, first 2 shown]
	s_waitcnt lgkmcnt(1)
	v_lshrrev_b32_e32 v108, 16, v55
	v_fma_f16 v99, v38, v62, v35
	v_mul_f16_sdwa v35, v38, v62 dst_sel:DWORD dst_unused:UNUSED_PAD src0_sel:WORD_1 src1_sel:DWORD
	v_fma_f16 v62, v38, v106, -v35
	v_mul_f16_sdwa v35, v41, v108 dst_sel:DWORD dst_unused:UNUSED_PAD src0_sel:WORD_1 src1_sel:DWORD
	s_waitcnt lgkmcnt(0)
	v_lshrrev_b32_e32 v109, 16, v57
	v_fma_f16 v100, v41, v55, v35
	v_mul_f16_sdwa v35, v41, v55 dst_sel:DWORD dst_unused:UNUSED_PAD src0_sel:WORD_1 src1_sel:DWORD
	v_fma_f16 v41, v41, v108, -v35
	v_mul_f16_sdwa v35, v42, v109 dst_sel:DWORD dst_unused:UNUSED_PAD src0_sel:WORD_1 src1_sel:DWORD
	v_lshrrev_b32_e32 v111, 16, v56
	v_fma_f16 v55, v42, v57, v35
	v_mul_f16_sdwa v35, v42, v57 dst_sel:DWORD dst_unused:UNUSED_PAD src0_sel:WORD_1 src1_sel:DWORD
	v_fma_f16 v42, v42, v109, -v35
	v_mul_f16_sdwa v35, v43, v111 dst_sel:DWORD dst_unused:UNUSED_PAD src0_sel:WORD_1 src1_sel:DWORD
	;; [unrolled: 5-line block ×3, first 2 shown]
	v_mul_f16_sdwa v36, v45, v69 dst_sel:DWORD dst_unused:UNUSED_PAD src0_sel:WORD_1 src1_sel:DWORD
	v_fma_f16 v56, v44, v58, v35
	v_mul_f16_sdwa v35, v44, v58 dst_sel:DWORD dst_unused:UNUSED_PAD src0_sel:WORD_1 src1_sel:DWORD
	v_fma_f16 v37, v45, v72, -v36
	v_mul_f16_sdwa v36, v46, v71 dst_sel:DWORD dst_unused:UNUSED_PAD src0_sel:WORD_1 src1_sel:DWORD
	v_mul_f16_sdwa v38, v46, v70 dst_sel:DWORD dst_unused:UNUSED_PAD src0_sel:WORD_1 src1_sel:DWORD
	v_fma_f16 v44, v44, v112, -v35
	v_mul_f16_sdwa v35, v45, v72 dst_sel:DWORD dst_unused:UNUSED_PAD src0_sel:WORD_1 src1_sel:DWORD
	v_fma_f16 v36, v46, v70, v36
	v_fma_f16 v38, v46, v71, -v38
	v_add_f16_e32 v46, v113, v63
	v_lshrrev_b32_e32 v95, 16, v53
	v_fma_f16 v35, v45, v69, v35
	v_add_f16_e32 v45, v53, v113
	v_fma_f16 v46, v46, -0.5, v53
	v_sub_f16_e32 v53, v33, v34
	s_mov_b32 s6, 0xbaee
	s_movk_i32 s7, 0x3aee
	v_fma_f16 v58, v53, s6, v46
	v_fma_f16 v46, v53, s7, v46
	v_add_f16_e32 v53, v95, v33
	v_add_f16_e32 v33, v33, v34
	;; [unrolled: 1-line block ×3, first 2 shown]
	v_fma_f16 v33, v33, -0.5, v95
	v_sub_f16_e32 v34, v113, v63
	v_add_f16_e32 v45, v45, v63
	v_fma_f16 v63, v34, s7, v33
	v_fma_f16 v69, v34, s6, v33
	v_add_f16_e32 v33, v54, v65
	v_add_f16_e32 v70, v33, v96
	v_add_f16_e32 v33, v65, v96
	v_lshrrev_b32_e32 v98, 16, v54
	v_fma_f16 v33, v33, -0.5, v54
	v_sub_f16_e32 v34, v64, v66
	v_fma_f16 v54, v34, s6, v33
	v_fma_f16 v71, v34, s7, v33
	v_add_f16_e32 v33, v98, v64
	v_add_f16_e32 v72, v33, v66
	v_add_f16_e32 v33, v64, v66
	v_fma_f16 v33, v33, -0.5, v98
	v_sub_f16_e32 v34, v65, v96
	v_fma_f16 v64, v34, s7, v33
	v_fma_f16 v65, v34, s6, v33
	v_add_f16_e32 v33, v31, v97
	v_add_f16_e32 v66, v33, v59
	v_add_f16_e32 v33, v97, v59
	v_lshrrev_b32_e32 v101, 16, v31
	v_fma_f16 v31, v33, -0.5, v31
	v_sub_f16_e32 v33, v39, v40
	v_fma_f16 v95, v33, s6, v31
	v_fma_f16 v96, v33, s7, v31
	v_add_f16_e32 v31, v101, v39
	v_add_f16_e32 v98, v31, v40
	v_add_f16_e32 v31, v39, v40
	v_fma_f16 v31, v31, -0.5, v101
	v_sub_f16_e32 v33, v97, v59
	;; [unrolled: 15-line block ×3, first 2 shown]
	v_fma_f16 v60, v32, s7, v31
	v_fma_f16 v61, v32, s6, v31
	v_add_f16_e32 v31, v29, v100
	v_add_f16_e32 v62, v31, v55
	;; [unrolled: 1-line block ×3, first 2 shown]
	v_lshrrev_b32_e32 v107, 16, v29
	v_fma_f16 v29, v31, -0.5, v29
	v_sub_f16_e32 v31, v41, v42
	v_fma_f16 v99, v31, s6, v29
	v_fma_f16 v103, v31, s7, v29
	v_add_f16_e32 v29, v107, v41
	v_pack_b32_f16 v45, v45, v53
	v_pack_b32_f16 v53, v58, v63
	v_add_f16_e32 v104, v29, v42
	v_add_f16_e32 v29, v41, v42
	s_waitcnt lgkmcnt(0)
	; wave barrier
	ds_write2_b32 v142, v45, v53 offset1:12
	v_pack_b32_f16 v45, v46, v69
	v_fma_f16 v29, v29, -0.5, v107
	v_sub_f16_e32 v31, v100, v55
	ds_write_b32 v142, v45 offset:96
	v_pack_b32_f16 v45, v70, v72
	v_pack_b32_f16 v46, v54, v64
	v_fma_f16 v41, v31, s7, v29
	v_fma_f16 v42, v31, s6, v29
	v_add_f16_e32 v29, v30, v57
	ds_write2_b32 v144, v45, v46 offset1:12
	v_pack_b32_f16 v45, v71, v65
	v_add_f16_e32 v55, v29, v56
	v_add_f16_e32 v29, v57, v56
	ds_write_b32 v144, v45 offset:96
	v_pack_b32_f16 v45, v66, v98
	v_pack_b32_f16 v39, v95, v39
	v_lshrrev_b32_e32 v110, 16, v30
	v_fma_f16 v29, v29, -0.5, v30
	v_sub_f16_e32 v30, v43, v44
	ds_write2_b32 v145, v45, v39 offset1:12
	v_pack_b32_f16 v39, v96, v40
	v_fma_f16 v100, v30, s6, v29
	v_fma_f16 v105, v30, s7, v29
	v_add_f16_e32 v29, v110, v43
	ds_write_b32 v145, v39 offset:96
	v_pack_b32_f16 v39, v59, v102
	v_pack_b32_f16 v40, v97, v60
	v_add_f16_e32 v106, v29, v44
	v_add_f16_e32 v29, v43, v44
	ds_write2_b32 v146, v39, v40 offset1:12
	v_pack_b32_f16 v39, v101, v61
	v_fma_f16 v29, v29, -0.5, v110
	v_sub_f16_e32 v30, v57, v56
	ds_write_b32 v146, v39 offset:96
	v_pack_b32_f16 v39, v62, v104
	v_pack_b32_f16 v40, v99, v41
	v_fma_f16 v43, v30, s7, v29
	v_fma_f16 v44, v30, s6, v29
	v_add_f16_e32 v29, v36, v35
	v_add_f16_e32 v31, v38, v37
	ds_write2_b32 v147, v39, v40 offset1:12
	v_pack_b32_f16 v39, v103, v42
	v_fma_f16 v29, v29, -0.5, v67
	v_sub_f16_e32 v30, v37, v38
	v_fma_f16 v31, v31, -0.5, v68
	v_sub_f16_e32 v32, v35, v36
	ds_write_b32 v147, v39 offset:96
	v_pack_b32_f16 v39, v55, v106
	v_pack_b32_f16 v40, v100, v43
	v_fma_f16 v33, v30, s7, v29
	v_fma_f16 v34, v32, s6, v31
	ds_write2_b32 v148, v39, v40 offset1:12
	v_pack_b32_f16 v39, v105, v44
	ds_write_b32 v148, v39 offset:96
	s_and_saveexec_b64 s[6:7], s[0:1]
	s_cbranch_execz .LBB0_21
; %bb.20:
	v_mul_f16_e32 v30, 0x3aee, v30
	v_mul_f16_e32 v32, 0x3aee, v32
	v_add_f16_e32 v31, v32, v31
	v_sub_f16_e32 v29, v29, v30
	v_add_f16_e32 v30, v37, v68
	v_add_f16_e32 v32, v67, v35
	;; [unrolled: 1-line block ×4, first 2 shown]
	v_lshlrev_b32_e32 v35, 2, v143
	v_pack_b32_f16 v30, v32, v30
	v_pack_b32_f16 v29, v29, v31
	s_mov_b32 s0, 0x5040100
	ds_write2_b32 v35, v30, v29 offset1:12
	v_perm_b32 v29, v34, v33, s0
	ds_write_b32 v35, v29 offset:96
.LBB0_21:
	s_or_b64 exec, exec, s[6:7]
	v_add_u32_e32 v31, 0x200, v73
	s_waitcnt lgkmcnt(0)
	; wave barrier
	s_waitcnt lgkmcnt(0)
	ds_read2_b32 v[31:32], v31 offset0:124 offset1:187
	v_add_u32_e32 v35, 0x600, v73
	ds_read2_b32 v[35:36], v35 offset0:120 offset1:183
	v_add_u32_e32 v57, 0xa00, v73
	;; [unrolled: 2-line block ×3, first 2 shown]
	s_waitcnt lgkmcnt(2)
	v_lshrrev_b32_e32 v59, 16, v31
	ds_read2_b32 v[39:40], v39 offset0:112 offset1:175
	v_mul_f16_sdwa v104, v4, v59 dst_sel:DWORD dst_unused:UNUSED_PAD src0_sel:WORD_1 src1_sel:DWORD
	s_waitcnt lgkmcnt(2)
	v_lshrrev_b32_e32 v60, 16, v35
	v_fma_f16 v104, v4, v31, v104
	v_mul_f16_sdwa v31, v4, v31 dst_sel:DWORD dst_unused:UNUSED_PAD src0_sel:WORD_1 src1_sel:DWORD
	v_fma_f16 v4, v4, v59, -v31
	v_mul_f16_sdwa v31, v5, v60 dst_sel:DWORD dst_unused:UNUSED_PAD src0_sel:WORD_1 src1_sel:DWORD
	s_waitcnt lgkmcnt(1)
	v_lshrrev_b32_e32 v61, 16, v37
	v_fma_f16 v31, v5, v35, v31
	v_mul_f16_sdwa v35, v5, v35 dst_sel:DWORD dst_unused:UNUSED_PAD src0_sel:WORD_1 src1_sel:DWORD
	v_fma_f16 v5, v5, v60, -v35
	;; [unrolled: 6-line block ×3, first 2 shown]
	v_mul_f16_sdwa v37, v7, v62 dst_sel:DWORD dst_unused:UNUSED_PAD src0_sel:WORD_1 src1_sel:DWORD
	v_lshrrev_b32_e32 v64, 16, v32
	v_fma_f16 v37, v7, v39, v37
	v_mul_f16_sdwa v39, v7, v39 dst_sel:DWORD dst_unused:UNUSED_PAD src0_sel:WORD_1 src1_sel:DWORD
	v_fma_f16 v7, v7, v62, -v39
	v_mul_f16_sdwa v39, v8, v64 dst_sel:DWORD dst_unused:UNUSED_PAD src0_sel:WORD_1 src1_sel:DWORD
	v_lshrrev_b32_e32 v65, 16, v36
	v_add_u32_e32 v68, 0x400, v73
	v_fma_f16 v39, v8, v32, v39
	v_mul_f16_sdwa v32, v8, v32 dst_sel:DWORD dst_unused:UNUSED_PAD src0_sel:WORD_1 src1_sel:DWORD
	ds_read2_b32 v[43:44], v68 offset0:122 offset1:185
	v_fma_f16 v8, v8, v64, -v32
	v_mul_f16_sdwa v32, v9, v65 dst_sel:DWORD dst_unused:UNUSED_PAD src0_sel:WORD_1 src1_sel:DWORD
	v_lshrrev_b32_e32 v66, 16, v38
	v_add_u32_e32 v69, 0x800, v73
	v_fma_f16 v32, v9, v36, v32
	v_mul_f16_sdwa v36, v9, v36 dst_sel:DWORD dst_unused:UNUSED_PAD src0_sel:WORD_1 src1_sel:DWORD
	ds_read2_b32 v[45:46], v69 offset0:118 offset1:181
	;; [unrolled: 7-line block ×3, first 2 shown]
	v_fma_f16 v10, v10, v66, -v38
	v_mul_f16_sdwa v38, v11, v67 dst_sel:DWORD dst_unused:UNUSED_PAD src0_sel:WORD_1 src1_sel:DWORD
	v_add_u32_e32 v71, 0x1000, v73
	s_waitcnt lgkmcnt(2)
	v_lshrrev_b32_e32 v95, 16, v43
	v_fma_f16 v38, v11, v40, v38
	v_mul_f16_sdwa v40, v11, v40 dst_sel:DWORD dst_unused:UNUSED_PAD src0_sel:WORD_1 src1_sel:DWORD
	ds_read2_b32 v[55:56], v71 offset0:110 offset1:173
	v_fma_f16 v11, v11, v67, -v40
	v_mul_f16_sdwa v40, v12, v95 dst_sel:DWORD dst_unused:UNUSED_PAD src0_sel:WORD_1 src1_sel:DWORD
	s_waitcnt lgkmcnt(2)
	v_lshrrev_b32_e32 v96, 16, v45
	v_fma_f16 v40, v12, v43, v40
	v_mul_f16_sdwa v43, v12, v43 dst_sel:DWORD dst_unused:UNUSED_PAD src0_sel:WORD_1 src1_sel:DWORD
	v_fma_f16 v12, v12, v95, -v43
	v_mul_f16_sdwa v43, v13, v96 dst_sel:DWORD dst_unused:UNUSED_PAD src0_sel:WORD_1 src1_sel:DWORD
	s_waitcnt lgkmcnt(1)
	v_lshrrev_b32_e32 v97, 16, v53
	v_fma_f16 v43, v13, v45, v43
	v_mul_f16_sdwa v45, v13, v45 dst_sel:DWORD dst_unused:UNUSED_PAD src0_sel:WORD_1 src1_sel:DWORD
	;; [unrolled: 6-line block ×3, first 2 shown]
	v_fma_f16 v14, v14, v97, -v53
	v_mul_f16_sdwa v53, v15, v98 dst_sel:DWORD dst_unused:UNUSED_PAD src0_sel:WORD_1 src1_sel:DWORD
	v_lshrrev_b32_e32 v100, 16, v44
	v_fma_f16 v53, v15, v55, v53
	v_mul_f16_sdwa v55, v15, v55 dst_sel:DWORD dst_unused:UNUSED_PAD src0_sel:WORD_1 src1_sel:DWORD
	ds_read2_b32 v[29:30], v73 offset1:63
	v_fma_f16 v15, v15, v98, -v55
	v_mul_f16_sdwa v55, v16, v100 dst_sel:DWORD dst_unused:UNUSED_PAD src0_sel:WORD_1 src1_sel:DWORD
	v_lshrrev_b32_e32 v101, 16, v46
	v_fma_f16 v55, v16, v44, v55
	v_mul_f16_sdwa v44, v16, v44 dst_sel:DWORD dst_unused:UNUSED_PAD src0_sel:WORD_1 src1_sel:DWORD
	v_fma_f16 v16, v16, v100, -v44
	v_mul_f16_sdwa v44, v17, v101 dst_sel:DWORD dst_unused:UNUSED_PAD src0_sel:WORD_1 src1_sel:DWORD
	v_lshrrev_b32_e32 v102, 16, v54
	v_fma_f16 v44, v17, v46, v44
	v_mul_f16_sdwa v46, v17, v46 dst_sel:DWORD dst_unused:UNUSED_PAD src0_sel:WORD_1 src1_sel:DWORD
	v_fma_f16 v17, v17, v101, -v46
	v_mul_f16_sdwa v46, v18, v102 dst_sel:DWORD dst_unused:UNUSED_PAD src0_sel:WORD_1 src1_sel:DWORD
	v_add_f16_e32 v59, v31, v35
	v_lshrrev_b32_e32 v103, 16, v56
	v_fma_f16 v46, v18, v54, v46
	v_mul_f16_sdwa v54, v18, v54 dst_sel:DWORD dst_unused:UNUSED_PAD src0_sel:WORD_1 src1_sel:DWORD
	s_waitcnt lgkmcnt(0)
	v_fma_f16 v59, v59, -0.5, v29
	v_sub_f16_e32 v60, v4, v7
	s_mov_b32 s1, 0xbb9c
	s_movk_i32 s7, 0x3b9c
	v_fma_f16 v18, v18, v102, -v54
	v_mul_f16_sdwa v54, v19, v103 dst_sel:DWORD dst_unused:UNUSED_PAD src0_sel:WORD_1 src1_sel:DWORD
	v_fma_f16 v61, v60, s1, v59
	v_sub_f16_e32 v62, v5, v6
	s_mov_b32 s0, 0xb8b4
	v_sub_f16_e32 v64, v104, v31
	v_sub_f16_e32 v65, v37, v35
	v_fma_f16 v59, v60, s7, v59
	s_movk_i32 s12, 0x38b4
	v_fma_f16 v54, v19, v56, v54
	v_mul_f16_sdwa v56, v19, v56 dst_sel:DWORD dst_unused:UNUSED_PAD src0_sel:WORD_1 src1_sel:DWORD
	v_fma_f16 v61, v62, s0, v61
	v_add_f16_e32 v64, v64, v65
	s_movk_i32 s6, 0x34f2
	v_fma_f16 v59, v62, s12, v59
	v_fma_f16 v19, v19, v103, -v56
	v_add_f16_e32 v56, v29, v104
	v_fma_f16 v61, v64, s6, v61
	v_fma_f16 v59, v64, s6, v59
	v_add_f16_e32 v64, v104, v37
	v_lshrrev_b32_e32 v58, 16, v29
	v_add_f16_e32 v56, v56, v31
	v_fma_f16 v29, v64, -0.5, v29
	v_add_f16_e32 v56, v56, v35
	v_fma_f16 v64, v62, s7, v29
	v_sub_f16_e32 v65, v31, v104
	v_sub_f16_e32 v66, v35, v37
	v_fma_f16 v29, v62, s1, v29
	v_add_f16_e32 v62, v5, v6
	v_add_f16_e32 v56, v56, v37
	v_fma_f16 v64, v60, s0, v64
	v_add_f16_e32 v65, v65, v66
	v_fma_f16 v29, v60, s12, v29
	v_fma_f16 v62, v62, -0.5, v58
	v_sub_f16_e32 v37, v104, v37
	v_fma_f16 v64, v65, s6, v64
	v_fma_f16 v29, v65, s6, v29
	;; [unrolled: 1-line block ×3, first 2 shown]
	v_sub_f16_e32 v31, v31, v35
	v_fma_f16 v35, v31, s12, v65
	v_sub_f16_e32 v65, v4, v5
	v_sub_f16_e32 v66, v7, v6
	v_add_f16_e32 v65, v65, v66
	v_fma_f16 v66, v65, s6, v35
	v_fma_f16 v35, v37, s1, v62
	;; [unrolled: 1-line block ×3, first 2 shown]
	v_add_f16_e32 v60, v58, v4
	v_fma_f16 v62, v65, s6, v35
	v_add_f16_e32 v35, v4, v7
	v_add_f16_e32 v60, v60, v5
	v_fma_f16 v35, v35, -0.5, v58
	v_sub_f16_e32 v4, v5, v4
	v_sub_f16_e32 v5, v6, v7
	v_fma_f16 v58, v31, s1, v35
	v_add_f16_e32 v4, v4, v5
	v_fma_f16 v5, v31, s7, v35
	v_fma_f16 v58, v37, s12, v58
	;; [unrolled: 1-line block ×5, first 2 shown]
	v_add_f16_e32 v4, v30, v39
	v_add_f16_e32 v4, v4, v32
	;; [unrolled: 1-line block ×6, first 2 shown]
	v_fma_f16 v4, v4, -0.5, v30
	v_sub_f16_e32 v5, v8, v11
	v_add_f16_e32 v60, v60, v7
	v_fma_f16 v6, v5, s1, v4
	v_sub_f16_e32 v7, v9, v10
	v_sub_f16_e32 v35, v39, v32
	;; [unrolled: 1-line block ×3, first 2 shown]
	v_fma_f16 v4, v5, s7, v4
	v_add_f16_e32 v35, v35, v37
	v_fma_f16 v4, v7, s12, v4
	v_fma_f16 v95, v35, s6, v4
	v_add_f16_e32 v4, v39, v38
	v_fma_f16 v6, v7, s0, v6
	v_fma_f16 v4, v4, -0.5, v30
	v_lshrrev_b32_e32 v63, 16, v30
	v_fma_f16 v67, v35, s6, v6
	v_fma_f16 v6, v7, s7, v4
	v_sub_f16_e32 v30, v32, v39
	v_sub_f16_e32 v35, v36, v38
	v_fma_f16 v4, v7, s1, v4
	v_fma_f16 v6, v5, s0, v6
	v_add_f16_e32 v30, v30, v35
	v_fma_f16 v4, v5, s12, v4
	v_fma_f16 v96, v30, s6, v6
	;; [unrolled: 1-line block ×3, first 2 shown]
	v_add_f16_e32 v4, v63, v8
	v_add_f16_e32 v4, v4, v9
	;; [unrolled: 1-line block ×5, first 2 shown]
	v_fma_f16 v4, v4, -0.5, v63
	v_sub_f16_e32 v5, v39, v38
	v_fma_f16 v6, v5, s7, v4
	v_sub_f16_e32 v7, v32, v36
	v_sub_f16_e32 v32, v8, v9
	;; [unrolled: 1-line block ×3, first 2 shown]
	v_fma_f16 v4, v5, s1, v4
	ds_read2_b32 v[41:42], v73 offset0:126 offset1:189
	v_fma_f16 v6, v7, s12, v6
	v_add_f16_e32 v32, v32, v35
	v_fma_f16 v4, v7, s0, v4
	v_fma_f16 v98, v32, s6, v6
	v_fma_f16 v32, v32, s6, v4
	v_add_f16_e32 v4, v8, v11
	v_fma_f16 v4, v4, -0.5, v63
	v_fma_f16 v6, v7, s1, v4
	v_sub_f16_e32 v8, v9, v8
	v_sub_f16_e32 v9, v10, v11
	v_fma_f16 v4, v7, s7, v4
	v_add_f16_e32 v8, v8, v9
	v_fma_f16 v4, v5, s0, v4
	v_fma_f16 v11, v8, s6, v4
	s_waitcnt lgkmcnt(0)
	v_add_f16_e32 v4, v41, v40
	v_add_f16_e32 v4, v4, v43
	v_add_f16_e32 v4, v4, v45
	v_add_f16_e32 v63, v4, v53
	v_add_f16_e32 v4, v43, v45
	v_fma_f16 v6, v5, s12, v6
	v_fma_f16 v4, v4, -0.5, v41
	v_sub_f16_e32 v5, v12, v15
	v_fma_f16 v10, v8, s6, v6
	v_fma_f16 v6, v5, s1, v4
	v_sub_f16_e32 v7, v13, v14
	v_sub_f16_e32 v8, v40, v43
	;; [unrolled: 1-line block ×3, first 2 shown]
	v_fma_f16 v6, v7, s0, v6
	v_add_f16_e32 v8, v8, v9
	v_fma_f16 v100, v8, s6, v6
	v_fma_f16 v4, v5, s7, v4
	v_add_f16_e32 v6, v40, v53
	v_fma_f16 v4, v7, s12, v4
	v_fma_f16 v6, v6, -0.5, v41
	v_fma_f16 v4, v8, s6, v4
	v_fma_f16 v8, v7, s7, v6
	v_sub_f16_e32 v9, v43, v40
	v_sub_f16_e32 v35, v45, v53
	v_fma_f16 v6, v7, s1, v6
	v_lshrrev_b32_e32 v72, 16, v41
	v_fma_f16 v8, v5, s0, v8
	v_add_f16_e32 v9, v9, v35
	v_fma_f16 v5, v5, s12, v6
	v_fma_f16 v101, v9, s6, v5
	v_add_f16_e32 v5, v72, v12
	v_add_f16_e32 v5, v5, v13
	;; [unrolled: 1-line block ×5, first 2 shown]
	v_fma_f16 v5, v5, -0.5, v72
	v_sub_f16_e32 v6, v40, v53
	v_fma_f16 v41, v9, s6, v8
	v_fma_f16 v7, v6, s7, v5
	v_sub_f16_e32 v8, v43, v45
	v_sub_f16_e32 v9, v12, v13
	;; [unrolled: 1-line block ×3, first 2 shown]
	v_fma_f16 v5, v6, s1, v5
	v_add_f16_e32 v9, v9, v35
	v_fma_f16 v5, v8, s0, v5
	v_fma_f16 v35, v9, s6, v5
	v_add_f16_e32 v5, v12, v15
	v_fma_f16 v7, v8, s12, v7
	v_fma_f16 v5, v5, -0.5, v72
	v_fma_f16 v43, v9, s6, v7
	v_fma_f16 v7, v8, s1, v5
	v_sub_f16_e32 v9, v13, v12
	v_sub_f16_e32 v12, v14, v15
	v_fma_f16 v5, v8, s7, v5
	v_fma_f16 v7, v6, s12, v7
	v_add_f16_e32 v9, v9, v12
	v_fma_f16 v5, v6, s0, v5
	v_add_f16_e32 v6, v44, v46
	v_fma_f16 v12, v9, s6, v7
	v_fma_f16 v7, v6, -0.5, v42
	v_sub_f16_e32 v8, v16, v19
	v_fma_f16 v13, v9, s6, v5
	v_fma_f16 v6, v8, s1, v7
	v_sub_f16_e32 v14, v17, v18
	v_sub_f16_e32 v9, v55, v44
	v_sub_f16_e32 v15, v54, v46
	v_fma_f16 v7, v8, s7, v7
	v_fma_f16 v6, v14, s0, v6
	v_add_f16_e32 v9, v9, v15
	v_fma_f16 v7, v14, s12, v7
	v_fma_f16 v6, v9, s6, v6
	;; [unrolled: 1-line block ×3, first 2 shown]
	v_add_f16_e32 v7, v55, v54
	v_fma_f16 v15, v7, -0.5, v42
	v_lshrrev_b32_e32 v99, 16, v42
	v_fma_f16 v7, v14, s7, v15
	v_fma_f16 v14, v14, s1, v15
	v_fma_f16 v7, v8, s0, v7
	v_fma_f16 v8, v8, s12, v14
	v_add_f16_e32 v14, v99, v16
	v_sub_f16_e32 v36, v44, v55
	v_sub_f16_e32 v37, v46, v54
	v_add_f16_e32 v14, v14, v17
	v_add_f16_e32 v36, v36, v37
	v_add_f16_e32 v14, v14, v18
	v_fma_f16 v7, v36, s6, v7
	v_fma_f16 v8, v36, s6, v8
	v_add_f16_e32 v36, v14, v19
	v_add_f16_e32 v14, v17, v18
	v_fma_f16 v14, v14, -0.5, v99
	v_sub_f16_e32 v15, v55, v54
	v_fma_f16 v37, v15, s7, v14
	v_sub_f16_e32 v40, v44, v46
	v_sub_f16_e32 v38, v16, v17
	;; [unrolled: 1-line block ×3, first 2 shown]
	v_fma_f16 v14, v15, s1, v14
	v_fma_f16 v37, v40, s12, v37
	v_add_f16_e32 v38, v38, v39
	v_fma_f16 v14, v40, s0, v14
	v_fma_f16 v37, v38, s6, v37
	;; [unrolled: 1-line block ×3, first 2 shown]
	v_add_f16_e32 v14, v16, v19
	v_fma_f16 v14, v14, -0.5, v99
	v_fma_f16 v39, v40, s1, v14
	v_sub_f16_e32 v16, v17, v16
	v_sub_f16_e32 v17, v18, v19
	v_fma_f16 v14, v40, s7, v14
	v_add_f16_e32 v16, v16, v17
	v_fma_f16 v14, v15, s0, v14
	v_fma_f16 v39, v15, s12, v39
	;; [unrolled: 1-line block ×3, first 2 shown]
	v_pack_b32_f16 v14, v56, v60
	v_pack_b32_f16 v15, v61, v66
	s_waitcnt lgkmcnt(0)
	; wave barrier
	ds_write2_b32 v149, v14, v15 offset1:36
	v_pack_b32_f16 v14, v64, v58
	v_pack_b32_f16 v15, v29, v31
	ds_write2_b32 v149, v14, v15 offset0:72 offset1:108
	v_pack_b32_f16 v14, v59, v62
	v_pack_b32_f16 v10, v96, v10
	;; [unrolled: 1-line block ×3, first 2 shown]
	v_add_f16_e32 v5, v42, v55
	ds_write_b32 v149, v14 offset:576
	ds_write2_b32 v150, v10, v11 offset0:72 offset1:108
	v_pack_b32_f16 v10, v95, v32
	v_add_f16_e32 v5, v5, v44
	v_pack_b32_f16 v14, v65, v97
	v_pack_b32_f16 v15, v67, v98
	ds_write_b32 v150, v10 offset:576
	v_pack_b32_f16 v10, v63, v102
	v_pack_b32_f16 v11, v100, v43
	v_add_f16_e32 v5, v5, v46
	ds_write2_b32 v150, v14, v15 offset1:36
	ds_write2_b32 v151, v10, v11 offset1:36
	v_pack_b32_f16 v10, v41, v12
	v_pack_b32_f16 v11, v101, v13
	v_add_f16_e32 v5, v5, v54
	ds_write2_b32 v151, v10, v11 offset0:72 offset1:108
	v_pack_b32_f16 v10, v4, v35
	v_fma_f16 v39, v16, s6, v39
	ds_write_b32 v151, v10 offset:576
	v_pack_b32_f16 v10, v5, v36
	v_pack_b32_f16 v11, v6, v37
	ds_write2_b32 v152, v10, v11 offset1:36
	v_pack_b32_f16 v10, v7, v39
	v_pack_b32_f16 v11, v8, v40
	ds_write2_b32 v152, v10, v11 offset0:72 offset1:108
	v_pack_b32_f16 v10, v9, v38
	ds_write_b32 v152, v10 offset:576
	s_waitcnt lgkmcnt(0)
	; wave barrier
	s_waitcnt lgkmcnt(0)
	ds_read2_b32 v[10:11], v73 offset1:63
	ds_read2_b32 v[31:32], v73 offset0:180 offset1:243
	ds_read2_b32 v[29:30], v68 offset0:104 offset1:167
	;; [unrolled: 1-line block ×6, first 2 shown]
	s_and_saveexec_b64 s[0:1], s[2:3]
	s_cbranch_execz .LBB0_23
; %bb.22:
	v_add_u32_e32 v4, 0x100, v73
	v_add_u32_e32 v6, 0x700, v73
	;; [unrolled: 1-line block ×3, first 2 shown]
	ds_read2_b32 v[4:5], v4 offset0:62 offset1:242
	ds_read2_b32 v[6:7], v6 offset0:38 offset1:218
	ds_read2_b32 v[8:9], v8 offset0:14 offset1:194
	ds_read_b32 v33, v73 offset:4824
	s_waitcnt lgkmcnt(3)
	v_lshrrev_b32_e32 v35, 16, v4
	v_lshrrev_b32_e32 v36, 16, v5
	s_waitcnt lgkmcnt(2)
	v_lshrrev_b32_e32 v37, 16, v6
	v_lshrrev_b32_e32 v39, 16, v7
	;; [unrolled: 3-line block ×3, first 2 shown]
	s_waitcnt lgkmcnt(0)
	v_lshrrev_b32_e32 v34, 16, v33
.LBB0_23:
	s_or_b64 exec, exec, s[0:1]
	s_waitcnt lgkmcnt(5)
	v_lshrrev_b32_e32 v41, 16, v31
	v_mul_f16_sdwa v59, v20, v41 dst_sel:DWORD dst_unused:UNUSED_PAD src0_sel:WORD_1 src1_sel:DWORD
	s_waitcnt lgkmcnt(4)
	v_lshrrev_b32_e32 v42, 16, v29
	v_fma_f16 v59, v20, v31, v59
	v_mul_f16_sdwa v31, v20, v31 dst_sel:DWORD dst_unused:UNUSED_PAD src0_sel:WORD_1 src1_sel:DWORD
	v_fma_f16 v20, v20, v41, -v31
	v_mul_f16_sdwa v31, v21, v42 dst_sel:DWORD dst_unused:UNUSED_PAD src0_sel:WORD_1 src1_sel:DWORD
	v_lshrrev_b32_e32 v53, 16, v32
	v_fma_f16 v31, v21, v29, v31
	v_mul_f16_sdwa v29, v21, v29 dst_sel:DWORD dst_unused:UNUSED_PAD src0_sel:WORD_1 src1_sel:DWORD
	s_waitcnt lgkmcnt(3)
	v_lshrrev_b32_e32 v43, 16, v18
	v_fma_f16 v21, v21, v42, -v29
	v_mul_f16_sdwa v42, v24, v53 dst_sel:DWORD dst_unused:UNUSED_PAD src0_sel:WORD_1 src1_sel:DWORD
	v_lshrrev_b32_e32 v54, 16, v30
	v_mul_f16_sdwa v29, v22, v43 dst_sel:DWORD dst_unused:UNUSED_PAD src0_sel:WORD_1 src1_sel:DWORD
	v_fma_f16 v42, v24, v32, v42
	v_mul_f16_sdwa v32, v24, v32 dst_sel:DWORD dst_unused:UNUSED_PAD src0_sel:WORD_1 src1_sel:DWORD
	s_waitcnt lgkmcnt(2)
	v_lshrrev_b32_e32 v44, 16, v16
	v_fma_f16 v29, v22, v18, v29
	v_mul_f16_sdwa v18, v22, v18 dst_sel:DWORD dst_unused:UNUSED_PAD src0_sel:WORD_1 src1_sel:DWORD
	v_fma_f16 v24, v24, v53, -v32
	v_mul_f16_sdwa v32, v25, v54 dst_sel:DWORD dst_unused:UNUSED_PAD src0_sel:WORD_1 src1_sel:DWORD
	v_lshrrev_b32_e32 v55, 16, v19
	v_fma_f16 v18, v22, v43, -v18
	v_mul_f16_sdwa v22, v23, v44 dst_sel:DWORD dst_unused:UNUSED_PAD src0_sel:WORD_1 src1_sel:DWORD
	v_fma_f16 v32, v25, v30, v32
	v_mul_f16_sdwa v30, v25, v30 dst_sel:DWORD dst_unused:UNUSED_PAD src0_sel:WORD_1 src1_sel:DWORD
	s_waitcnt lgkmcnt(1)
	v_lshrrev_b32_e32 v45, 16, v14
	s_waitcnt lgkmcnt(0)
	v_lshrrev_b32_e32 v46, 16, v12
	v_fma_f16 v22, v23, v16, v22
	v_mul_f16_sdwa v16, v23, v16 dst_sel:DWORD dst_unused:UNUSED_PAD src0_sel:WORD_1 src1_sel:DWORD
	v_fma_f16 v25, v25, v54, -v30
	v_mul_f16_sdwa v30, v26, v55 dst_sel:DWORD dst_unused:UNUSED_PAD src0_sel:WORD_1 src1_sel:DWORD
	v_lshrrev_b32_e32 v56, 16, v17
	v_fma_f16 v16, v23, v44, -v16
	v_mul_f16_sdwa v23, v49, v45 dst_sel:DWORD dst_unused:UNUSED_PAD src0_sel:WORD_1 src1_sel:DWORD
	v_mul_f16_sdwa v41, v50, v46 dst_sel:DWORD dst_unused:UNUSED_PAD src0_sel:WORD_1 src1_sel:DWORD
	v_fma_f16 v30, v26, v19, v30
	v_mul_f16_sdwa v19, v26, v19 dst_sel:DWORD dst_unused:UNUSED_PAD src0_sel:WORD_1 src1_sel:DWORD
	v_fma_f16 v23, v49, v14, v23
	;; [unrolled: 2-line block ×3, first 2 shown]
	v_mul_f16_sdwa v12, v50, v12 dst_sel:DWORD dst_unused:UNUSED_PAD src0_sel:WORD_1 src1_sel:DWORD
	v_fma_f16 v19, v26, v55, -v19
	v_mul_f16_sdwa v26, v27, v56 dst_sel:DWORD dst_unused:UNUSED_PAD src0_sel:WORD_1 src1_sel:DWORD
	v_lshrrev_b32_e32 v57, 16, v15
	v_lshrrev_b32_e32 v58, 16, v13
	v_fma_f16 v14, v49, v45, -v14
	v_fma_f16 v12, v50, v46, -v12
	v_fma_f16 v26, v27, v17, v26
	v_mul_f16_sdwa v17, v27, v17 dst_sel:DWORD dst_unused:UNUSED_PAD src0_sel:WORD_1 src1_sel:DWORD
	v_fma_f16 v17, v27, v56, -v17
	v_mul_f16_sdwa v27, v51, v57 dst_sel:DWORD dst_unused:UNUSED_PAD src0_sel:WORD_1 src1_sel:DWORD
	v_mul_f16_sdwa v43, v52, v58 dst_sel:DWORD dst_unused:UNUSED_PAD src0_sel:WORD_1 src1_sel:DWORD
	v_add_f16_e32 v44, v59, v41
	v_add_f16_e32 v45, v20, v12
	v_sub_f16_e32 v12, v20, v12
	v_add_f16_e32 v20, v31, v23
	v_add_f16_e32 v46, v21, v14
	v_fma_f16 v27, v51, v15, v27
	v_mul_f16_sdwa v15, v51, v15 dst_sel:DWORD dst_unused:UNUSED_PAD src0_sel:WORD_1 src1_sel:DWORD
	v_fma_f16 v43, v52, v13, v43
	v_mul_f16_sdwa v13, v52, v13 dst_sel:DWORD dst_unused:UNUSED_PAD src0_sel:WORD_1 src1_sel:DWORD
	v_sub_f16_e32 v41, v59, v41
	v_sub_f16_e32 v23, v31, v23
	;; [unrolled: 1-line block ×3, first 2 shown]
	v_add_f16_e32 v21, v29, v22
	v_add_f16_e32 v31, v18, v16
	v_sub_f16_e32 v22, v22, v29
	v_sub_f16_e32 v16, v16, v18
	v_add_f16_e32 v18, v20, v44
	v_add_f16_e32 v29, v46, v45
	v_fma_f16 v15, v51, v57, -v15
	v_fma_f16 v13, v52, v58, -v13
	v_sub_f16_e32 v49, v20, v44
	v_sub_f16_e32 v50, v46, v45
	v_sub_f16_e32 v44, v44, v21
	v_sub_f16_e32 v45, v45, v31
	v_sub_f16_e32 v20, v21, v20
	v_sub_f16_e32 v46, v31, v46
	v_add_f16_e32 v51, v22, v23
	v_add_f16_e32 v52, v16, v14
	v_sub_f16_e32 v53, v22, v23
	v_sub_f16_e32 v54, v16, v14
	;; [unrolled: 1-line block ×4, first 2 shown]
	v_add_f16_e32 v18, v21, v18
	v_add_f16_e32 v21, v31, v29
	v_sub_f16_e32 v22, v41, v22
	v_sub_f16_e32 v16, v12, v16
	v_add_f16_e32 v29, v51, v41
	v_add_f16_e32 v12, v52, v12
	;; [unrolled: 1-line block ×3, first 2 shown]
	v_add_f16_sdwa v10, v10, v21 dst_sel:DWORD dst_unused:UNUSED_PAD src0_sel:WORD_1 src1_sel:DWORD
	v_mul_f16_e32 v41, 0x3a52, v44
	v_mul_f16_e32 v44, 0x3a52, v45
	s_movk_i32 s15, 0x2b26
	v_mul_f16_e32 v45, 0x2b26, v20
	v_mul_f16_e32 v51, 0x2b26, v46
	;; [unrolled: 1-line block ×4, first 2 shown]
	s_mov_b32 s6, 0xbb00
	v_mul_f16_e32 v54, 0xbb00, v23
	v_mul_f16_e32 v55, 0xbb00, v14
	s_mov_b32 s16, 0xbcab
	s_movk_i32 s7, 0x39e0
	s_mov_b32 s12, 0xb9e0
	s_mov_b32 s17, 0xb574
	s_movk_i32 s13, 0x3574
	v_fma_f16 v18, v18, s16, v31
	v_fma_f16 v21, v21, s16, v10
	;; [unrolled: 1-line block ×4, first 2 shown]
	v_fma_f16 v45, v49, s7, -v45
	v_fma_f16 v51, v50, s7, -v51
	;; [unrolled: 1-line block ×4, first 2 shown]
	v_fma_f16 v49, v22, s17, v52
	v_fma_f16 v50, v16, s17, v53
	v_fma_f16 v14, v14, s6, -v53
	v_fma_f16 v22, v22, s13, -v54
	;; [unrolled: 1-line block ×3, first 2 shown]
	s_mov_b32 s14, 0xb70e
	v_fma_f16 v23, v23, s6, -v52
	v_add_f16_e32 v20, v20, v18
	v_add_f16_e32 v46, v46, v21
	;; [unrolled: 1-line block ×6, first 2 shown]
	v_fma_f16 v41, v29, s14, v49
	v_fma_f16 v44, v12, s14, v50
	v_fma_f16 v14, v12, s14, v14
	v_fma_f16 v22, v29, s14, v22
	v_fma_f16 v12, v12, s14, v16
	v_fma_f16 v23, v29, s14, v23
	v_sub_f16_e32 v29, v46, v41
	v_add_f16_e32 v49, v12, v18
	v_sub_f16_e32 v50, v21, v22
	v_sub_f16_e32 v12, v18, v12
	v_add_f16_e32 v18, v22, v21
	v_add_f16_e32 v21, v41, v46
	;; [unrolled: 1-line block ×4, first 2 shown]
	v_sub_f16_e32 v42, v42, v43
	v_sub_f16_e32 v13, v24, v13
	v_add_f16_e32 v24, v32, v27
	v_add_f16_e32 v43, v25, v15
	v_sub_f16_e32 v27, v32, v27
	v_sub_f16_e32 v15, v25, v15
	v_add_f16_e32 v25, v30, v26
	v_add_f16_e32 v32, v19, v17
	;; [unrolled: 4-line block ×3, first 2 shown]
	v_add_f16_e32 v16, v44, v20
	v_sub_f16_e32 v52, v45, v14
	v_add_f16_e32 v53, v23, v51
	v_add_f16_e32 v14, v14, v45
	v_sub_f16_e32 v23, v51, v23
	v_sub_f16_e32 v20, v20, v44
	v_sub_f16_e32 v44, v24, v22
	v_sub_f16_e32 v45, v43, v41
	v_sub_f16_e32 v22, v22, v25
	v_sub_f16_e32 v41, v41, v32
	v_sub_f16_e32 v24, v25, v24
	v_sub_f16_e32 v43, v32, v43
	v_add_f16_e32 v46, v26, v27
	v_add_f16_e32 v51, v17, v15
	v_sub_f16_e32 v54, v26, v27
	v_sub_f16_e32 v55, v17, v15
	v_add_f16_e32 v19, v25, v19
	v_add_f16_e32 v25, v32, v30
	v_sub_f16_e32 v26, v42, v26
	v_sub_f16_e32 v17, v13, v17
	;; [unrolled: 1-line block ×4, first 2 shown]
	v_add_f16_e32 v30, v46, v42
	v_add_f16_e32 v13, v51, v13
	;; [unrolled: 1-line block ×3, first 2 shown]
	v_add_f16_sdwa v11, v11, v25 dst_sel:DWORD dst_unused:UNUSED_PAD src0_sel:WORD_1 src1_sel:DWORD
	v_mul_f16_e32 v22, 0x3a52, v22
	v_mul_f16_e32 v41, 0x3a52, v41
	;; [unrolled: 1-line block ×8, first 2 shown]
	v_fma_f16 v19, v19, s16, v32
	v_fma_f16 v25, v25, s16, v11
	;; [unrolled: 1-line block ×4, first 2 shown]
	v_fma_f16 v42, v44, s7, -v42
	v_fma_f16 v46, v45, s7, -v46
	;; [unrolled: 1-line block ×4, first 2 shown]
	v_fma_f16 v44, v26, s17, v51
	v_fma_f16 v45, v17, s17, v54
	v_pack_b32_f16 v16, v16, v29
	v_fma_f16 v27, v27, s6, -v51
	v_fma_f16 v15, v15, s6, -v54
	;; [unrolled: 1-line block ×4, first 2 shown]
	v_add_f16_e32 v24, v24, v19
	v_add_f16_e32 v43, v43, v25
	;; [unrolled: 1-line block ×6, first 2 shown]
	v_fma_f16 v25, v30, s14, v44
	v_fma_f16 v41, v13, s14, v45
	ds_write_b32 v73, v16 offset:720
	v_pack_b32_f16 v16, v49, v50
	v_pack_b32_f16 v12, v12, v18
	v_fma_f16 v27, v30, s14, v27
	v_fma_f16 v15, v13, s14, v15
	;; [unrolled: 1-line block ×4, first 2 shown]
	v_add_f16_e32 v17, v41, v24
	v_sub_f16_e32 v30, v43, v25
	v_pack_b32_f16 v10, v31, v10
	ds_write_b32 v73, v16 offset:1440
	v_pack_b32_f16 v16, v52, v53
	v_pack_b32_f16 v14, v14, v23
	ds_write_b32 v73, v12 offset:3600
	v_pack_b32_f16 v12, v20, v21
	v_pack_b32_f16 v11, v32, v11
	v_add_f16_e32 v44, v13, v19
	v_sub_f16_e32 v45, v22, v26
	ds_write_b32 v73, v16 offset:2160
	ds_write_b32 v73, v14 offset:2880
	ds_write_b32 v73, v12 offset:4320
	ds_write2_b32 v73, v10, v11 offset1:63
	v_pack_b32_f16 v10, v17, v30
	v_sub_f16_e32 v51, v42, v15
	v_add_f16_e32 v54, v27, v46
	ds_write_b32 v73, v10 offset:972
	v_pack_b32_f16 v10, v44, v45
	v_add_f16_e32 v15, v15, v42
	v_sub_f16_e32 v27, v46, v27
	ds_write_b32 v73, v10 offset:1692
	v_pack_b32_f16 v10, v51, v54
	v_sub_f16_e32 v13, v19, v13
	v_add_f16_e32 v19, v26, v22
	ds_write_b32 v73, v10 offset:2412
	v_pack_b32_f16 v10, v15, v27
	v_sub_f16_e32 v22, v24, v41
	v_add_f16_e32 v24, v25, v43
	ds_write_b32 v73, v10 offset:3132
	v_pack_b32_f16 v10, v13, v19
	ds_write_b32 v73, v10 offset:3852
	v_pack_b32_f16 v10, v22, v24
	ds_write_b32 v73, v10 offset:4572
	s_and_saveexec_b64 s[0:1], s[2:3]
	s_cbranch_execz .LBB0_25
; %bb.24:
	v_mul_f16_sdwa v14, v2, v39 dst_sel:DWORD dst_unused:UNUSED_PAD src0_sel:WORD_1 src1_sel:DWORD
	v_mul_f16_sdwa v10, v0, v36 dst_sel:DWORD dst_unused:UNUSED_PAD src0_sel:WORD_1 src1_sel:DWORD
	v_fma_f16 v14, v2, v7, v14
	v_mul_f16_sdwa v17, v1, v37 dst_sel:DWORD dst_unused:UNUSED_PAD src0_sel:WORD_1 src1_sel:DWORD
	v_mul_f16_sdwa v18, v47, v38 dst_sel:DWORD dst_unused:UNUSED_PAD src0_sel:WORD_1 src1_sel:DWORD
	;; [unrolled: 1-line block ×3, first 2 shown]
	v_fma_f16 v10, v0, v5, v10
	v_mul_f16_sdwa v13, v3, v40 dst_sel:DWORD dst_unused:UNUSED_PAD src0_sel:WORD_1 src1_sel:DWORD
	v_fma_f16 v17, v1, v6, v17
	v_fma_f16 v18, v47, v9, v18
	v_mul_f16_sdwa v22, v48, v33 dst_sel:DWORD dst_unused:UNUSED_PAD src0_sel:WORD_1 src1_sel:DWORD
	v_mul_f16_sdwa v5, v0, v5 dst_sel:DWORD dst_unused:UNUSED_PAD src0_sel:WORD_1 src1_sel:DWORD
	v_fma_f16 v2, v2, v39, -v7
	v_mul_f16_sdwa v7, v3, v8 dst_sel:DWORD dst_unused:UNUSED_PAD src0_sel:WORD_1 src1_sel:DWORD
	v_mul_f16_sdwa v9, v47, v9 dst_sel:DWORD dst_unused:UNUSED_PAD src0_sel:WORD_1 src1_sel:DWORD
	;; [unrolled: 1-line block ×4, first 2 shown]
	v_fma_f16 v13, v3, v8, v13
	v_fma_f16 v22, v48, v34, -v22
	v_fma_f16 v0, v0, v36, -v5
	v_fma_f16 v3, v3, v40, -v7
	v_fma_f16 v9, v47, v38, -v9
	v_fma_f16 v1, v1, v37, -v6
	v_fma_f16 v11, v48, v33, v11
	v_add_f16_e32 v5, v22, v0
	v_add_f16_e32 v7, v3, v2
	;; [unrolled: 1-line block ×3, first 2 shown]
	v_sub_f16_e32 v0, v0, v22
	v_sub_f16_e32 v2, v3, v2
	;; [unrolled: 1-line block ×6, first 2 shown]
	v_add_f16_e32 v25, v6, v5
	v_add_f16_e32 v10, v11, v10
	v_add_f16_e32 v11, v13, v14
	v_add_f16_e32 v14, v18, v17
	v_sub_f16_e32 v3, v0, v2
	v_sub_f16_e32 v9, v2, v1
	v_add_f16_e32 v2, v2, v1
	v_sub_f16_e32 v16, v12, v15
	v_sub_f16_e32 v20, v15, v19
	v_add_f16_e32 v15, v15, v19
	;; [unrolled: 3-line block ×3, first 2 shown]
	v_add_f16_e32 v27, v14, v10
	v_add_f16_e32 v2, v2, v0
	v_sub_f16_e32 v0, v1, v0
	v_add_f16_e32 v15, v15, v12
	v_mul_f16_e32 v8, 0x3a52, v8
	v_mul_f16_e32 v24, 0x2b26, v23
	v_add_f16_e32 v25, v35, v7
	v_sub_f16_e32 v13, v10, v11
	v_sub_f16_e32 v17, v11, v14
	v_add_f16_e32 v11, v11, v27
	v_mul_f16_e32 v9, 0x3846, v9
	v_sub_f16_e32 v12, v19, v12
	v_sub_f16_e32 v5, v6, v5
	v_mul_f16_e32 v1, 0xbb00, v0
	v_mul_f16_e32 v20, 0x3846, v20
	v_fma_f16 v23, v23, s15, v8
	v_fma_f16 v7, v7, s16, v25
	v_mul_f16_e32 v13, 0x3a52, v13
	v_mul_f16_e32 v18, 0x2b26, v17
	v_add_f16_e32 v4, v4, v11
	v_fma_f16 v22, v3, s17, v9
	v_mul_f16_e32 v19, 0xbb00, v12
	v_fma_f16 v6, v5, s12, -v8
	v_sub_f16_e32 v10, v14, v10
	v_fma_f16 v1, v3, s13, -v1
	v_fma_f16 v5, v5, s7, -v24
	;; [unrolled: 1-line block ×3, first 2 shown]
	v_fma_f16 v21, v16, s17, v20
	v_add_f16_e32 v23, v23, v7
	v_fma_f16 v17, v17, s15, v13
	v_fma_f16 v11, v11, s16, v4
	;; [unrolled: 1-line block ×3, first 2 shown]
	v_fma_f16 v16, v16, s13, -v19
	v_add_f16_e32 v6, v6, v7
	v_fma_f16 v13, v10, s12, -v13
	v_fma_f16 v1, v2, s14, v1
	v_add_f16_e32 v5, v5, v7
	v_fma_f16 v7, v12, s6, -v20
	v_fma_f16 v0, v2, s14, v0
	v_fma_f16 v2, v10, s7, -v18
	v_fma_f16 v21, v15, s14, v21
	v_add_f16_e32 v17, v17, v11
	v_fma_f16 v16, v15, s14, v16
	v_add_f16_e32 v13, v13, v11
	;; [unrolled: 2-line block ×3, first 2 shown]
	v_add_f16_e32 v8, v16, v6
	v_sub_f16_e32 v3, v13, v1
	v_sub_f16_e32 v12, v5, v7
	v_add_f16_e32 v9, v0, v2
	v_add_f16_e32 v5, v7, v5
	v_sub_f16_e32 v0, v2, v0
	v_sub_f16_e32 v2, v6, v16
	v_add_f16_e32 v1, v1, v13
	v_sub_f16_e32 v6, v23, v21
	v_add_f16_e32 v7, v22, v17
	v_pack_b32_f16 v4, v4, v25
	v_pack_b32_f16 v6, v7, v6
	v_add_u32_e32 v7, 0x100, v73
	v_pack_b32_f16 v1, v1, v2
	v_pack_b32_f16 v0, v0, v5
	v_add_u32_e32 v2, 0x700, v73
	v_add_f16_e32 v26, v21, v23
	v_sub_f16_e32 v27, v17, v22
	ds_write2_b32 v7, v4, v6 offset0:62 offset1:242
	ds_write2_b32 v2, v1, v0 offset0:38 offset1:218
	v_pack_b32_f16 v0, v9, v12
	v_pack_b32_f16 v1, v3, v8
	v_add_u32_e32 v2, 0xd00, v73
	ds_write2_b32 v2, v0, v1 offset0:14 offset1:194
	v_pack_b32_f16 v0, v27, v26
	ds_write_b32 v73, v0 offset:4824
.LBB0_25:
	s_or_b64 exec, exec, s[0:1]
	s_waitcnt lgkmcnt(0)
	; wave barrier
	s_waitcnt lgkmcnt(0)
	ds_read2_b32 v[0:1], v73 offset1:63
	s_mov_b32 s2, 0x1a01a01a
	s_mov_b32 s3, 0x3f4a01a0
	v_mad_u64_u32 v[4:5], s[0:1], s10, v28, 0
	s_waitcnt lgkmcnt(0)
	v_lshrrev_b32_e32 v7, 16, v0
	v_mul_f16_sdwa v2, v94, v7 dst_sel:DWORD dst_unused:UNUSED_PAD src0_sel:WORD_1 src1_sel:DWORD
	v_fma_f16 v2, v94, v0, v2
	v_cvt_f32_f16_e32 v2, v2
	s_movk_i32 s6, 0x1ff
	v_mad_u64_u32 v[5:6], s[0:1], s11, v28, v[5:6]
	v_cvt_f64_f32_e32 v[2:3], v2
	s_movk_i32 s7, 0xffe
	v_mul_f16_sdwa v0, v94, v0 dst_sel:DWORD dst_unused:UNUSED_PAD src0_sel:WORD_1 src1_sel:DWORD
	v_fma_f16 v0, v94, v7, -v0
	v_mul_f64 v[2:3], v[2:3], s[2:3]
	v_cvt_f32_f16_e32 v7, v0
	v_mov_b32_e32 v0, 0x7c00
	s_movk_i32 s10, 0x40f
	s_mov_b32 s11, 0x8000
	v_and_or_b32 v2, v3, s6, v2
	v_cmp_ne_u32_e32 vcc, 0, v2
	v_lshrrev_b32_e32 v6, 8, v3
	v_bfe_u32 v8, v3, 20, 11
	v_cndmask_b32_e64 v2, 0, 1, vcc
	v_sub_u32_e32 v9, 0x3f1, v8
	v_and_or_b32 v2, v6, s7, v2
	v_med3_i32 v6, v9, 0, 13
	v_or_b32_e32 v9, 0x1000, v2
	v_lshrrev_b32_e32 v10, v6, v9
	v_lshlrev_b32_e32 v6, v6, v10
	v_cmp_ne_u32_e32 vcc, v6, v9
	v_cndmask_b32_e64 v6, 0, 1, vcc
	v_add_u32_e32 v8, 0xfffffc10, v8
	v_or_b32_e32 v6, v10, v6
	v_lshl_or_b32 v9, v8, 12, v2
	v_cmp_gt_i32_e32 vcc, 1, v8
	v_cndmask_b32_e32 v6, v9, v6, vcc
	v_and_b32_e32 v9, 7, v6
	v_cmp_lt_i32_e32 vcc, 5, v9
	v_cmp_eq_u32_e64 s[0:1], 3, v9
	v_lshrrev_b32_e32 v6, 2, v6
	s_or_b64 vcc, s[0:1], vcc
	v_addc_co_u32_e32 v9, vcc, 0, v6, vcc
	v_cvt_f64_f32_e32 v[6:7], v7
	v_cmp_gt_i32_e32 vcc, 31, v8
	v_cndmask_b32_e32 v9, v0, v9, vcc
	v_cmp_ne_u32_e32 vcc, 0, v2
	v_mul_f64 v[6:7], v[6:7], s[2:3]
	v_cndmask_b32_e64 v2, 0, 1, vcc
	v_lshl_or_b32 v2, v2, 9, v0
	v_cmp_eq_u32_e32 vcc, s10, v8
	v_cndmask_b32_e32 v2, v9, v2, vcc
	v_lshrrev_b32_e32 v3, 16, v3
	v_and_or_b32 v10, v3, s11, v2
	v_and_b32_e32 v10, 0xffff, v10
	v_and_or_b32 v2, v7, s6, v6
	v_cmp_ne_u32_e32 vcc, 0, v2
	v_cndmask_b32_e64 v2, 0, 1, vcc
	v_lshrrev_b32_e32 v3, 8, v7
	v_bfe_u32 v6, v7, 20, 11
	v_and_or_b32 v2, v3, s7, v2
	v_sub_u32_e32 v8, 0x3f1, v6
	v_or_b32_e32 v3, 0x1000, v2
	v_med3_i32 v8, v8, 0, 13
	v_lshrrev_b32_e32 v9, v8, v3
	v_lshlrev_b32_e32 v8, v8, v9
	v_cmp_ne_u32_e32 vcc, v8, v3
	v_cndmask_b32_e64 v3, 0, 1, vcc
	v_add_u32_e32 v6, 0xfffffc10, v6
	v_or_b32_e32 v3, v9, v3
	v_lshl_or_b32 v8, v6, 12, v2
	v_cmp_gt_i32_e32 vcc, 1, v6
	v_cndmask_b32_e32 v3, v8, v3, vcc
	v_and_b32_e32 v8, 7, v3
	v_cmp_lt_i32_e32 vcc, 5, v8
	v_cmp_eq_u32_e64 s[0:1], 3, v8
	v_lshrrev_b32_e32 v3, 2, v3
	s_or_b64 vcc, s[0:1], vcc
	v_addc_co_u32_e32 v3, vcc, 0, v3, vcc
	v_cmp_gt_i32_e32 vcc, 31, v6
	v_cndmask_b32_e32 v3, v0, v3, vcc
	v_cmp_ne_u32_e32 vcc, 0, v2
	v_cndmask_b32_e64 v2, 0, 1, vcc
	v_cmp_eq_u32_e32 vcc, s10, v6
	v_add_u32_e32 v6, 0x800, v73
	ds_read2_b32 v[8:9], v6 offset0:118 offset1:181
	v_lshl_or_b32 v2, v2, 9, v0
	v_cndmask_b32_e32 v11, v3, v2, vcc
	v_mad_u64_u32 v[2:3], s[0:1], s8, v93, 0
	s_waitcnt lgkmcnt(0)
	v_lshrrev_b32_e32 v13, 16, v8
	v_lshrrev_b32_e32 v12, 16, v7
	v_mad_u64_u32 v[6:7], s[0:1], s9, v93, v[3:4]
	v_mul_f16_sdwa v3, v92, v13 dst_sel:DWORD dst_unused:UNUSED_PAD src0_sel:WORD_1 src1_sel:DWORD
	v_fma_f16 v3, v92, v8, v3
	v_cvt_f32_f16_e32 v7, v3
	v_mov_b32_e32 v3, v6
	v_lshlrev_b64 v[4:5], 2, v[4:5]
	v_and_or_b32 v11, v12, s11, v11
	v_cvt_f64_f32_e32 v[6:7], v7
	v_lshl_or_b32 v10, v11, 16, v10
	v_mov_b32_e32 v11, s5
	v_add_co_u32_e32 v4, vcc, s4, v4
	v_mul_f64 v[6:7], v[6:7], s[2:3]
	v_lshlrev_b64 v[2:3], 2, v[2:3]
	v_addc_co_u32_e32 v5, vcc, v11, v5, vcc
	v_add_co_u32_e32 v2, vcc, v4, v2
	v_addc_co_u32_e32 v3, vcc, v5, v3, vcc
	v_and_or_b32 v4, v7, s6, v6
	v_cmp_ne_u32_e32 vcc, 0, v4
	v_cndmask_b32_e64 v4, 0, 1, vcc
	v_lshrrev_b32_e32 v5, 8, v7
	v_and_or_b32 v6, v5, s7, v4
	v_bfe_u32 v5, v7, 20, 11
	global_store_dword v[2:3], v10, off
	v_sub_u32_e32 v10, 0x3f1, v5
	v_or_b32_e32 v4, 0x1000, v6
	v_med3_i32 v10, v10, 0, 13
	v_lshrrev_b32_e32 v11, v10, v4
	v_lshlrev_b32_e32 v10, v10, v11
	v_mul_f16_sdwa v8, v92, v8 dst_sel:DWORD dst_unused:UNUSED_PAD src0_sel:WORD_1 src1_sel:DWORD
	v_cmp_ne_u32_e32 vcc, v10, v4
	v_fma_f16 v8, v92, v13, -v8
	v_cndmask_b32_e64 v4, 0, 1, vcc
	v_add_u32_e32 v10, 0xfffffc10, v5
	v_cvt_f32_f16_e32 v8, v8
	v_or_b32_e32 v4, v11, v4
	v_lshl_or_b32 v5, v10, 12, v6
	v_cmp_gt_i32_e32 vcc, 1, v10
	v_cndmask_b32_e32 v4, v5, v4, vcc
	v_and_b32_e32 v5, 7, v4
	v_cmp_lt_i32_e32 vcc, 5, v5
	v_cmp_eq_u32_e64 s[0:1], 3, v5
	v_lshrrev_b32_e32 v11, 2, v4
	v_cvt_f64_f32_e32 v[4:5], v8
	s_or_b64 vcc, s[0:1], vcc
	v_addc_co_u32_e32 v8, vcc, 0, v11, vcc
	v_mul_f64 v[4:5], v[4:5], s[2:3]
	v_cmp_gt_i32_e32 vcc, 31, v10
	v_cndmask_b32_e32 v8, v0, v8, vcc
	v_cmp_ne_u32_e32 vcc, 0, v6
	v_cndmask_b32_e64 v6, 0, 1, vcc
	v_lshl_or_b32 v6, v6, 9, v0
	v_cmp_eq_u32_e32 vcc, s10, v10
	v_cndmask_b32_e32 v6, v8, v6, vcc
	v_and_or_b32 v4, v5, s6, v4
	v_lshrrev_b32_e32 v7, 16, v7
	v_cmp_ne_u32_e32 vcc, 0, v4
	v_and_or_b32 v6, v7, s11, v6
	v_cndmask_b32_e64 v4, 0, 1, vcc
	v_lshrrev_b32_e32 v7, 8, v5
	v_bfe_u32 v8, v5, 20, 11
	v_and_or_b32 v4, v7, s7, v4
	v_sub_u32_e32 v10, 0x3f1, v8
	v_or_b32_e32 v7, 0x1000, v4
	v_med3_i32 v10, v10, 0, 13
	v_lshrrev_b32_e32 v11, v10, v7
	v_lshlrev_b32_e32 v10, v10, v11
	v_cmp_ne_u32_e32 vcc, v10, v7
	v_cndmask_b32_e64 v7, 0, 1, vcc
	v_add_u32_e32 v8, 0xfffffc10, v8
	v_or_b32_e32 v7, v11, v7
	v_lshl_or_b32 v10, v8, 12, v4
	v_cmp_gt_i32_e32 vcc, 1, v8
	v_cndmask_b32_e32 v7, v10, v7, vcc
	v_and_b32_e32 v10, 7, v7
	v_cmp_lt_i32_e32 vcc, 5, v10
	v_cmp_eq_u32_e64 s[0:1], 3, v10
	v_lshrrev_b32_e32 v7, 2, v7
	s_or_b64 vcc, s[0:1], vcc
	v_addc_co_u32_e32 v7, vcc, 0, v7, vcc
	v_cmp_gt_i32_e32 vcc, 31, v8
	v_cndmask_b32_e32 v7, v0, v7, vcc
	v_cmp_ne_u32_e32 vcc, 0, v4
	v_cndmask_b32_e64 v4, 0, 1, vcc
	v_lshl_or_b32 v4, v4, 9, v0
	v_cmp_eq_u32_e32 vcc, s10, v8
	v_cndmask_b32_e32 v4, v7, v4, vcc
	v_lshrrev_b32_e32 v7, 16, v1
	v_mul_f16_sdwa v8, v91, v7 dst_sel:DWORD dst_unused:UNUSED_PAD src0_sel:WORD_1 src1_sel:DWORD
	v_fma_f16 v8, v91, v1, v8
	v_cvt_f32_f16_e32 v8, v8
	v_lshrrev_b32_e32 v5, 16, v5
	v_and_or_b32 v4, v5, s11, v4
	v_and_b32_e32 v5, 0xffff, v6
	v_lshl_or_b32 v6, v4, 16, v5
	v_cvt_f64_f32_e32 v[4:5], v8
	s_mul_i32 s0, s9, 0x9d8
	s_mul_hi_u32 s4, s8, 0x9d8
	s_add_i32 s4, s4, s0
	v_mul_f64 v[4:5], v[4:5], s[2:3]
	s_mul_i32 s5, s8, 0x9d8
	v_mov_b32_e32 v8, s4
	v_add_co_u32_e32 v2, vcc, s5, v2
	v_addc_co_u32_e32 v3, vcc, v3, v8, vcc
	global_store_dword v[2:3], v6, off
	v_and_or_b32 v4, v5, s6, v4
	v_cmp_ne_u32_e32 vcc, 0, v4
	v_cndmask_b32_e64 v4, 0, 1, vcc
	v_lshrrev_b32_e32 v6, 8, v5
	v_bfe_u32 v8, v5, 20, 11
	v_and_or_b32 v4, v6, s7, v4
	v_sub_u32_e32 v10, 0x3f1, v8
	v_or_b32_e32 v6, 0x1000, v4
	v_med3_i32 v10, v10, 0, 13
	v_lshrrev_b32_e32 v11, v10, v6
	v_lshlrev_b32_e32 v10, v10, v11
	v_mul_f16_sdwa v1, v91, v1 dst_sel:DWORD dst_unused:UNUSED_PAD src0_sel:WORD_1 src1_sel:DWORD
	v_cmp_ne_u32_e32 vcc, v10, v6
	v_fma_f16 v1, v91, v7, -v1
	v_cndmask_b32_e64 v6, 0, 1, vcc
	v_add_u32_e32 v8, 0xfffffc10, v8
	v_cvt_f32_f16_e32 v1, v1
	v_or_b32_e32 v6, v11, v6
	v_lshl_or_b32 v10, v8, 12, v4
	v_cmp_gt_i32_e32 vcc, 1, v8
	v_cndmask_b32_e32 v6, v10, v6, vcc
	v_and_b32_e32 v10, 7, v6
	v_cmp_lt_i32_e32 vcc, 5, v10
	v_cmp_eq_u32_e64 s[0:1], 3, v10
	v_lshrrev_b32_e32 v10, 2, v6
	v_cvt_f64_f32_e32 v[6:7], v1
	s_or_b64 vcc, s[0:1], vcc
	v_addc_co_u32_e32 v1, vcc, 0, v10, vcc
	v_mul_f64 v[6:7], v[6:7], s[2:3]
	v_cmp_gt_i32_e32 vcc, 31, v8
	v_cndmask_b32_e32 v1, v0, v1, vcc
	v_cmp_ne_u32_e32 vcc, 0, v4
	v_cndmask_b32_e64 v4, 0, 1, vcc
	v_lshl_or_b32 v4, v4, 9, v0
	v_cmp_eq_u32_e32 vcc, s10, v8
	v_cndmask_b32_e32 v1, v1, v4, vcc
	v_lshrrev_b32_e32 v4, 16, v5
	v_and_or_b32 v1, v4, s11, v1
	v_and_or_b32 v4, v7, s6, v6
	v_cmp_ne_u32_e32 vcc, 0, v4
	v_cndmask_b32_e64 v4, 0, 1, vcc
	v_lshrrev_b32_e32 v5, 8, v7
	v_bfe_u32 v6, v7, 20, 11
	v_and_or_b32 v4, v5, s7, v4
	v_sub_u32_e32 v8, 0x3f1, v6
	v_or_b32_e32 v5, 0x1000, v4
	v_med3_i32 v8, v8, 0, 13
	v_lshrrev_b32_e32 v10, v8, v5
	v_lshlrev_b32_e32 v8, v8, v10
	v_cmp_ne_u32_e32 vcc, v8, v5
	v_cndmask_b32_e64 v5, 0, 1, vcc
	v_add_u32_e32 v6, 0xfffffc10, v6
	v_or_b32_e32 v5, v10, v5
	v_lshl_or_b32 v8, v6, 12, v4
	v_cmp_gt_i32_e32 vcc, 1, v6
	v_cndmask_b32_e32 v5, v8, v5, vcc
	v_and_b32_e32 v8, 7, v5
	v_cmp_lt_i32_e32 vcc, 5, v8
	v_cmp_eq_u32_e64 s[0:1], 3, v8
	v_lshrrev_b32_e32 v5, 2, v5
	s_or_b64 vcc, s[0:1], vcc
	v_addc_co_u32_e32 v5, vcc, 0, v5, vcc
	v_cmp_gt_i32_e32 vcc, 31, v6
	v_cndmask_b32_e32 v5, v0, v5, vcc
	v_cmp_ne_u32_e32 vcc, 0, v4
	v_cndmask_b32_e64 v4, 0, 1, vcc
	v_lshl_or_b32 v4, v4, 9, v0
	v_cmp_eq_u32_e32 vcc, s10, v6
	v_cndmask_b32_e32 v4, v5, v4, vcc
	v_lshrrev_b32_e32 v5, 16, v7
	v_lshrrev_b32_e32 v6, 16, v9
	v_and_or_b32 v4, v5, s11, v4
	v_mul_f16_sdwa v5, v90, v6 dst_sel:DWORD dst_unused:UNUSED_PAD src0_sel:WORD_1 src1_sel:DWORD
	v_fma_f16 v5, v90, v9, v5
	v_cvt_f32_f16_e32 v5, v5
	v_and_b32_e32 v1, 0xffff, v1
	v_lshl_or_b32 v7, v4, 16, v1
	s_mul_hi_u32 s1, s8, 0xfffff724
	v_cvt_f64_f32_e32 v[4:5], v5
	s_mul_i32 s0, s9, 0xfffff724
	s_sub_i32 s9, s1, s8
	s_add_i32 s9, s9, s0
	v_mul_f64 v[4:5], v[4:5], s[2:3]
	s_mulk_i32 s8, 0xf724
	v_mov_b32_e32 v8, s9
	v_add_co_u32_e32 v1, vcc, s8, v2
	v_addc_co_u32_e32 v2, vcc, v3, v8, vcc
	global_store_dword v[1:2], v7, off
	v_and_or_b32 v3, v5, s6, v4
	v_cmp_ne_u32_e32 vcc, 0, v3
	v_cndmask_b32_e64 v3, 0, 1, vcc
	v_lshrrev_b32_e32 v4, 8, v5
	v_and_or_b32 v7, v4, s7, v3
	v_bfe_u32 v4, v5, 20, 11
	v_sub_u32_e32 v8, 0x3f1, v4
	v_or_b32_e32 v3, 0x1000, v7
	v_med3_i32 v8, v8, 0, 13
	v_lshrrev_b32_e32 v10, v8, v3
	v_lshlrev_b32_e32 v8, v8, v10
	v_mul_f16_sdwa v9, v90, v9 dst_sel:DWORD dst_unused:UNUSED_PAD src0_sel:WORD_1 src1_sel:DWORD
	v_cmp_ne_u32_e32 vcc, v8, v3
	v_fma_f16 v6, v90, v6, -v9
	v_cndmask_b32_e64 v3, 0, 1, vcc
	v_add_u32_e32 v8, 0xfffffc10, v4
	v_cvt_f32_f16_e32 v6, v6
	v_or_b32_e32 v3, v10, v3
	v_lshl_or_b32 v4, v8, 12, v7
	v_cmp_gt_i32_e32 vcc, 1, v8
	v_cndmask_b32_e32 v3, v4, v3, vcc
	v_and_b32_e32 v4, 7, v3
	v_cmp_lt_i32_e32 vcc, 5, v4
	v_cmp_eq_u32_e64 s[0:1], 3, v4
	v_lshrrev_b32_e32 v9, 2, v3
	v_cvt_f64_f32_e32 v[3:4], v6
	s_or_b64 vcc, s[0:1], vcc
	v_addc_co_u32_e32 v6, vcc, 0, v9, vcc
	v_mul_f64 v[3:4], v[3:4], s[2:3]
	v_cmp_gt_i32_e32 vcc, 31, v8
	v_cndmask_b32_e32 v6, v0, v6, vcc
	v_cmp_ne_u32_e32 vcc, 0, v7
	v_cndmask_b32_e64 v7, 0, 1, vcc
	v_lshl_or_b32 v7, v7, 9, v0
	v_cmp_eq_u32_e32 vcc, s10, v8
	v_cndmask_b32_e32 v6, v6, v7, vcc
	v_and_or_b32 v3, v4, s6, v3
	v_lshrrev_b32_e32 v5, 16, v5
	v_cmp_ne_u32_e32 vcc, 0, v3
	v_and_or_b32 v9, v5, s11, v6
	v_cndmask_b32_e64 v3, 0, 1, vcc
	v_lshrrev_b32_e32 v5, 8, v4
	v_bfe_u32 v6, v4, 20, 11
	v_and_or_b32 v3, v5, s7, v3
	v_sub_u32_e32 v7, 0x3f1, v6
	v_or_b32_e32 v5, 0x1000, v3
	v_med3_i32 v7, v7, 0, 13
	v_lshrrev_b32_e32 v8, v7, v5
	v_lshlrev_b32_e32 v7, v7, v8
	v_cmp_ne_u32_e32 vcc, v7, v5
	v_cndmask_b32_e64 v5, 0, 1, vcc
	v_add_u32_e32 v7, 0xfffffc10, v6
	v_or_b32_e32 v5, v8, v5
	v_lshl_or_b32 v6, v7, 12, v3
	v_cmp_gt_i32_e32 vcc, 1, v7
	v_cndmask_b32_e32 v5, v6, v5, vcc
	v_and_b32_e32 v6, 7, v5
	v_cmp_lt_i32_e32 vcc, 5, v6
	v_cmp_eq_u32_e64 s[0:1], 3, v6
	v_lshrrev_b32_e32 v5, 2, v5
	s_or_b64 vcc, s[0:1], vcc
	v_addc_co_u32_e32 v8, vcc, 0, v5, vcc
	ds_read2_b32 v[5:6], v73 offset0:126 offset1:189
	v_cmp_gt_i32_e32 vcc, 31, v7
	v_cndmask_b32_e32 v8, v0, v8, vcc
	v_cmp_ne_u32_e32 vcc, 0, v3
	v_cndmask_b32_e64 v3, 0, 1, vcc
	s_waitcnt lgkmcnt(0)
	v_lshrrev_b32_e32 v10, 16, v5
	v_mul_f16_sdwa v11, v89, v10 dst_sel:DWORD dst_unused:UNUSED_PAD src0_sel:WORD_1 src1_sel:DWORD
	v_fma_f16 v11, v89, v5, v11
	v_cvt_f32_f16_e32 v11, v11
	v_lshl_or_b32 v3, v3, 9, v0
	v_cmp_eq_u32_e32 vcc, s10, v7
	v_cndmask_b32_e32 v3, v8, v3, vcc
	v_cvt_f64_f32_e32 v[7:8], v11
	v_lshrrev_b32_e32 v4, 16, v4
	v_and_or_b32 v11, v4, s11, v3
	v_add_co_u32_e32 v1, vcc, s5, v1
	v_mul_f64 v[3:4], v[7:8], s[2:3]
	v_mov_b32_e32 v8, s4
	v_and_b32_e32 v9, 0xffff, v9
	v_addc_co_u32_e32 v2, vcc, v2, v8, vcc
	v_lshl_or_b32 v7, v11, 16, v9
	global_store_dword v[1:2], v7, off
	v_mul_f16_sdwa v5, v89, v5 dst_sel:DWORD dst_unused:UNUSED_PAD src0_sel:WORD_1 src1_sel:DWORD
	v_and_or_b32 v3, v4, s6, v3
	v_cmp_ne_u32_e32 vcc, 0, v3
	v_cndmask_b32_e64 v3, 0, 1, vcc
	v_lshrrev_b32_e32 v7, 8, v4
	v_bfe_u32 v8, v4, 20, 11
	v_and_or_b32 v3, v7, s7, v3
	v_sub_u32_e32 v9, 0x3f1, v8
	v_or_b32_e32 v7, 0x1000, v3
	v_med3_i32 v9, v9, 0, 13
	v_lshrrev_b32_e32 v11, v9, v7
	v_lshlrev_b32_e32 v9, v9, v11
	v_cmp_ne_u32_e32 vcc, v9, v7
	v_fma_f16 v5, v89, v10, -v5
	v_cndmask_b32_e64 v7, 0, 1, vcc
	v_add_u32_e32 v9, 0xfffffc10, v8
	v_cvt_f32_f16_e32 v5, v5
	v_or_b32_e32 v7, v11, v7
	v_lshl_or_b32 v8, v9, 12, v3
	v_cmp_gt_i32_e32 vcc, 1, v9
	v_cndmask_b32_e32 v7, v8, v7, vcc
	v_and_b32_e32 v8, 7, v7
	v_cmp_lt_i32_e32 vcc, 5, v8
	v_cmp_eq_u32_e64 s[0:1], 3, v8
	v_lshrrev_b32_e32 v10, 2, v7
	v_cvt_f64_f32_e32 v[7:8], v5
	s_or_b64 vcc, s[0:1], vcc
	v_addc_co_u32_e32 v5, vcc, 0, v10, vcc
	v_mul_f64 v[7:8], v[7:8], s[2:3]
	v_cmp_gt_i32_e32 vcc, 31, v9
	v_cndmask_b32_e32 v5, v0, v5, vcc
	v_cmp_ne_u32_e32 vcc, 0, v3
	v_cndmask_b32_e64 v3, 0, 1, vcc
	v_lshl_or_b32 v3, v3, 9, v0
	v_cmp_eq_u32_e32 vcc, s10, v9
	v_cndmask_b32_e32 v3, v5, v3, vcc
	v_lshrrev_b32_e32 v4, 16, v4
	v_and_or_b32 v5, v4, s11, v3
	v_and_or_b32 v3, v8, s6, v7
	v_cmp_ne_u32_e32 vcc, 0, v3
	v_cndmask_b32_e64 v3, 0, 1, vcc
	v_lshrrev_b32_e32 v4, 8, v8
	v_and_or_b32 v7, v4, s7, v3
	v_bfe_u32 v4, v8, 20, 11
	v_sub_u32_e32 v9, 0x3f1, v4
	v_or_b32_e32 v3, 0x1000, v7
	v_med3_i32 v9, v9, 0, 13
	v_lshrrev_b32_e32 v10, v9, v3
	v_lshlrev_b32_e32 v9, v9, v10
	v_cmp_ne_u32_e32 vcc, v9, v3
	v_cndmask_b32_e64 v3, 0, 1, vcc
	v_add_u32_e32 v9, 0xfffffc10, v4
	v_or_b32_e32 v3, v10, v3
	v_lshl_or_b32 v4, v9, 12, v7
	v_cmp_gt_i32_e32 vcc, 1, v9
	v_cndmask_b32_e32 v3, v4, v3, vcc
	v_and_b32_e32 v4, 7, v3
	v_cmp_lt_i32_e32 vcc, 5, v4
	v_cmp_eq_u32_e64 s[0:1], 3, v4
	v_lshrrev_b32_e32 v3, 2, v3
	s_or_b64 vcc, s[0:1], vcc
	v_addc_co_u32_e32 v10, vcc, 0, v3, vcc
	v_add_u32_e32 v3, 0xa00, v73
	ds_read2_b32 v[3:4], v3 offset0:116 offset1:179
	v_cmp_gt_i32_e32 vcc, 31, v9
	v_cndmask_b32_e32 v10, v0, v10, vcc
	v_cmp_ne_u32_e32 vcc, 0, v7
	v_cndmask_b32_e64 v7, 0, 1, vcc
	s_waitcnt lgkmcnt(0)
	v_lshrrev_b32_e32 v11, 16, v3
	v_mul_f16_sdwa v12, v88, v11 dst_sel:DWORD dst_unused:UNUSED_PAD src0_sel:WORD_1 src1_sel:DWORD
	v_fma_f16 v12, v88, v3, v12
	v_cvt_f32_f16_e32 v12, v12
	v_lshl_or_b32 v7, v7, 9, v0
	v_cmp_eq_u32_e32 vcc, s10, v9
	v_cndmask_b32_e32 v7, v10, v7, vcc
	v_cvt_f64_f32_e32 v[9:10], v12
	v_lshrrev_b32_e32 v8, 16, v8
	v_and_or_b32 v12, v8, s11, v7
	v_and_b32_e32 v5, 0xffff, v5
	v_mul_f64 v[7:8], v[9:10], s[2:3]
	v_mov_b32_e32 v9, s9
	v_add_co_u32_e32 v1, vcc, s8, v1
	v_lshl_or_b32 v5, v12, 16, v5
	v_addc_co_u32_e32 v2, vcc, v2, v9, vcc
	global_store_dword v[1:2], v5, off
	v_and_or_b32 v5, v8, s6, v7
	v_cmp_ne_u32_e32 vcc, 0, v5
	v_cndmask_b32_e64 v5, 0, 1, vcc
	v_lshrrev_b32_e32 v7, 8, v8
	v_bfe_u32 v9, v8, 20, 11
	v_and_or_b32 v5, v7, s7, v5
	v_sub_u32_e32 v10, 0x3f1, v9
	v_or_b32_e32 v7, 0x1000, v5
	v_med3_i32 v10, v10, 0, 13
	v_lshrrev_b32_e32 v12, v10, v7
	v_lshlrev_b32_e32 v10, v10, v12
	v_cmp_ne_u32_e32 vcc, v10, v7
	v_mul_f16_sdwa v3, v88, v3 dst_sel:DWORD dst_unused:UNUSED_PAD src0_sel:WORD_1 src1_sel:DWORD
	v_cndmask_b32_e64 v7, 0, 1, vcc
	v_fma_f16 v3, v88, v11, -v3
	v_or_b32_e32 v7, v12, v7
	v_add_u32_e32 v12, 0xfffffc10, v9
	v_cvt_f32_f16_e32 v3, v3
	v_lshl_or_b32 v9, v12, 12, v5
	v_cmp_gt_i32_e32 vcc, 1, v12
	v_cndmask_b32_e32 v7, v9, v7, vcc
	v_and_b32_e32 v9, 7, v7
	v_cmp_lt_i32_e32 vcc, 5, v9
	v_cmp_eq_u32_e64 s[0:1], 3, v9
	v_cvt_f64_f32_e32 v[9:10], v3
	v_lshrrev_b32_e32 v7, 2, v7
	s_or_b64 vcc, s[0:1], vcc
	v_addc_co_u32_e32 v3, vcc, 0, v7, vcc
	v_mul_f64 v[9:10], v[9:10], s[2:3]
	v_cmp_gt_i32_e32 vcc, 31, v12
	v_cndmask_b32_e32 v3, v0, v3, vcc
	v_cmp_ne_u32_e32 vcc, 0, v5
	v_cndmask_b32_e64 v5, 0, 1, vcc
	v_lshl_or_b32 v5, v5, 9, v0
	v_cmp_eq_u32_e32 vcc, s10, v12
	v_cndmask_b32_e32 v3, v3, v5, vcc
	v_lshrrev_b32_e32 v5, 16, v8
	v_and_or_b32 v3, v5, s11, v3
	v_and_or_b32 v5, v10, s6, v9
	v_cmp_ne_u32_e32 vcc, 0, v5
	v_cndmask_b32_e64 v5, 0, 1, vcc
	v_lshrrev_b32_e32 v7, 8, v10
	v_bfe_u32 v8, v10, 20, 11
	v_and_or_b32 v5, v7, s7, v5
	v_sub_u32_e32 v9, 0x3f1, v8
	v_or_b32_e32 v7, 0x1000, v5
	v_med3_i32 v9, v9, 0, 13
	v_lshrrev_b32_e32 v11, v9, v7
	v_lshlrev_b32_e32 v9, v9, v11
	v_cmp_ne_u32_e32 vcc, v9, v7
	v_cndmask_b32_e64 v7, 0, 1, vcc
	v_add_u32_e32 v8, 0xfffffc10, v8
	v_or_b32_e32 v7, v11, v7
	v_lshl_or_b32 v9, v8, 12, v5
	v_cmp_gt_i32_e32 vcc, 1, v8
	v_cndmask_b32_e32 v7, v9, v7, vcc
	v_and_b32_e32 v9, 7, v7
	v_cmp_lt_i32_e32 vcc, 5, v9
	v_cmp_eq_u32_e64 s[0:1], 3, v9
	v_lshrrev_b32_e32 v9, 16, v6
	v_lshrrev_b32_e32 v7, 2, v7
	s_or_b64 vcc, s[0:1], vcc
	v_mul_f16_sdwa v11, v87, v9 dst_sel:DWORD dst_unused:UNUSED_PAD src0_sel:WORD_1 src1_sel:DWORD
	v_addc_co_u32_e32 v7, vcc, 0, v7, vcc
	v_fma_f16 v11, v87, v6, v11
	v_cmp_gt_i32_e32 vcc, 31, v8
	v_cvt_f32_f16_e32 v11, v11
	v_cndmask_b32_e32 v7, v0, v7, vcc
	v_cmp_ne_u32_e32 vcc, 0, v5
	v_cndmask_b32_e64 v5, 0, 1, vcc
	v_lshl_or_b32 v5, v5, 9, v0
	v_cmp_eq_u32_e32 vcc, s10, v8
	v_cndmask_b32_e32 v5, v7, v5, vcc
	v_cvt_f64_f32_e32 v[7:8], v11
	v_lshrrev_b32_e32 v10, 16, v10
	v_and_or_b32 v5, v10, s11, v5
	v_and_b32_e32 v3, 0xffff, v3
	v_mul_f64 v[7:8], v[7:8], s[2:3]
	v_lshl_or_b32 v3, v5, 16, v3
	v_mov_b32_e32 v5, s4
	v_add_co_u32_e32 v1, vcc, s5, v1
	v_addc_co_u32_e32 v2, vcc, v2, v5, vcc
	global_store_dword v[1:2], v3, off
	v_and_or_b32 v3, v8, s6, v7
	v_cmp_ne_u32_e32 vcc, 0, v3
	v_cndmask_b32_e64 v3, 0, 1, vcc
	v_lshrrev_b32_e32 v5, 8, v8
	v_bfe_u32 v7, v8, 20, 11
	v_and_or_b32 v3, v5, s7, v3
	v_sub_u32_e32 v10, 0x3f1, v7
	v_or_b32_e32 v5, 0x1000, v3
	v_med3_i32 v10, v10, 0, 13
	v_lshrrev_b32_e32 v11, v10, v5
	v_mul_f16_sdwa v6, v87, v6 dst_sel:DWORD dst_unused:UNUSED_PAD src0_sel:WORD_1 src1_sel:DWORD
	v_lshlrev_b32_e32 v10, v10, v11
	v_fma_f16 v6, v87, v9, -v6
	v_cmp_ne_u32_e32 vcc, v10, v5
	v_cvt_f32_f16_e32 v6, v6
	v_cndmask_b32_e64 v5, 0, 1, vcc
	v_add_u32_e32 v7, 0xfffffc10, v7
	v_or_b32_e32 v5, v11, v5
	v_lshl_or_b32 v10, v7, 12, v3
	v_cmp_gt_i32_e32 vcc, 1, v7
	v_cndmask_b32_e32 v5, v10, v5, vcc
	v_and_b32_e32 v10, 7, v5
	v_lshrrev_b32_e32 v9, 2, v5
	v_cvt_f64_f32_e32 v[5:6], v6
	v_cmp_lt_i32_e32 vcc, 5, v10
	v_cmp_eq_u32_e64 s[0:1], 3, v10
	s_or_b64 vcc, s[0:1], vcc
	v_mul_f64 v[5:6], v[5:6], s[2:3]
	v_addc_co_u32_e32 v9, vcc, 0, v9, vcc
	v_cmp_gt_i32_e32 vcc, 31, v7
	v_cndmask_b32_e32 v9, v0, v9, vcc
	v_cmp_ne_u32_e32 vcc, 0, v3
	v_cndmask_b32_e64 v3, 0, 1, vcc
	v_lshl_or_b32 v3, v3, 9, v0
	v_cmp_eq_u32_e32 vcc, s10, v7
	v_and_or_b32 v5, v6, s6, v5
	v_cndmask_b32_e32 v3, v9, v3, vcc
	v_lshrrev_b32_e32 v7, 16, v8
	v_cmp_ne_u32_e32 vcc, 0, v5
	v_and_or_b32 v3, v7, s11, v3
	v_cndmask_b32_e64 v5, 0, 1, vcc
	v_lshrrev_b32_e32 v7, 8, v6
	v_bfe_u32 v8, v6, 20, 11
	v_and_or_b32 v5, v7, s7, v5
	v_sub_u32_e32 v9, 0x3f1, v8
	v_or_b32_e32 v7, 0x1000, v5
	v_med3_i32 v9, v9, 0, 13
	v_lshrrev_b32_e32 v10, v9, v7
	v_lshlrev_b32_e32 v9, v9, v10
	v_cmp_ne_u32_e32 vcc, v9, v7
	v_cndmask_b32_e64 v7, 0, 1, vcc
	v_add_u32_e32 v8, 0xfffffc10, v8
	v_or_b32_e32 v7, v10, v7
	v_lshl_or_b32 v9, v8, 12, v5
	v_cmp_gt_i32_e32 vcc, 1, v8
	v_cndmask_b32_e32 v7, v9, v7, vcc
	v_and_b32_e32 v9, 7, v7
	v_cmp_lt_i32_e32 vcc, 5, v9
	v_cmp_eq_u32_e64 s[0:1], 3, v9
	v_lshrrev_b32_e32 v9, 16, v4
	v_lshrrev_b32_e32 v7, 2, v7
	s_or_b64 vcc, s[0:1], vcc
	v_mul_f16_sdwa v10, v86, v9 dst_sel:DWORD dst_unused:UNUSED_PAD src0_sel:WORD_1 src1_sel:DWORD
	v_addc_co_u32_e32 v7, vcc, 0, v7, vcc
	v_fma_f16 v10, v86, v4, v10
	v_cmp_gt_i32_e32 vcc, 31, v8
	v_cvt_f32_f16_e32 v10, v10
	v_cndmask_b32_e32 v7, v0, v7, vcc
	v_cmp_ne_u32_e32 vcc, 0, v5
	v_cndmask_b32_e64 v5, 0, 1, vcc
	v_lshl_or_b32 v5, v5, 9, v0
	v_cmp_eq_u32_e32 vcc, s10, v8
	v_cndmask_b32_e32 v5, v7, v5, vcc
	v_cvt_f64_f32_e32 v[7:8], v10
	v_lshrrev_b32_e32 v6, 16, v6
	v_and_or_b32 v10, v6, s11, v5
	v_and_b32_e32 v3, 0xffff, v3
	v_mul_f64 v[5:6], v[7:8], s[2:3]
	v_mov_b32_e32 v7, s9
	v_add_co_u32_e32 v1, vcc, s8, v1
	v_lshl_or_b32 v3, v10, 16, v3
	v_addc_co_u32_e32 v2, vcc, v2, v7, vcc
	global_store_dword v[1:2], v3, off
	v_and_or_b32 v3, v6, s6, v5
	v_cmp_ne_u32_e32 vcc, 0, v3
	v_cndmask_b32_e64 v3, 0, 1, vcc
	v_lshrrev_b32_e32 v5, 8, v6
	v_bfe_u32 v7, v6, 20, 11
	v_and_or_b32 v5, v5, s7, v3
	v_sub_u32_e32 v8, 0x3f1, v7
	v_or_b32_e32 v3, 0x1000, v5
	v_med3_i32 v8, v8, 0, 13
	v_lshrrev_b32_e32 v10, v8, v3
	v_lshlrev_b32_e32 v8, v8, v10
	v_mul_f16_sdwa v4, v86, v4 dst_sel:DWORD dst_unused:UNUSED_PAD src0_sel:WORD_1 src1_sel:DWORD
	v_cmp_ne_u32_e32 vcc, v8, v3
	v_fma_f16 v4, v86, v9, -v4
	v_cndmask_b32_e64 v3, 0, 1, vcc
	v_add_u32_e32 v7, 0xfffffc10, v7
	v_cvt_f32_f16_e32 v4, v4
	v_or_b32_e32 v3, v10, v3
	v_lshl_or_b32 v8, v7, 12, v5
	v_cmp_gt_i32_e32 vcc, 1, v7
	v_cndmask_b32_e32 v3, v8, v3, vcc
	v_and_b32_e32 v8, 7, v3
	v_cmp_lt_i32_e32 vcc, 5, v8
	v_cmp_eq_u32_e64 s[0:1], 3, v8
	v_lshrrev_b32_e32 v8, 2, v3
	v_cvt_f64_f32_e32 v[3:4], v4
	s_or_b64 vcc, s[0:1], vcc
	v_addc_co_u32_e32 v8, vcc, 0, v8, vcc
	v_mul_f64 v[3:4], v[3:4], s[2:3]
	v_cmp_gt_i32_e32 vcc, 31, v7
	v_cndmask_b32_e32 v8, v0, v8, vcc
	v_cmp_ne_u32_e32 vcc, 0, v5
	v_cndmask_b32_e64 v5, 0, 1, vcc
	v_lshl_or_b32 v5, v5, 9, v0
	v_cmp_eq_u32_e32 vcc, s10, v7
	v_cndmask_b32_e32 v5, v8, v5, vcc
	v_and_or_b32 v3, v4, s6, v3
	v_lshrrev_b32_e32 v6, 16, v6
	v_cmp_ne_u32_e32 vcc, 0, v3
	v_and_or_b32 v9, v6, s11, v5
	v_cndmask_b32_e64 v3, 0, 1, vcc
	v_lshrrev_b32_e32 v5, 8, v4
	v_bfe_u32 v6, v4, 20, 11
	v_and_or_b32 v3, v5, s7, v3
	v_sub_u32_e32 v7, 0x3f1, v6
	v_or_b32_e32 v5, 0x1000, v3
	v_med3_i32 v7, v7, 0, 13
	v_lshrrev_b32_e32 v8, v7, v5
	v_lshlrev_b32_e32 v7, v7, v8
	v_cmp_ne_u32_e32 vcc, v7, v5
	v_cndmask_b32_e64 v5, 0, 1, vcc
	v_add_u32_e32 v7, 0xfffffc10, v6
	v_or_b32_e32 v5, v8, v5
	v_lshl_or_b32 v6, v7, 12, v3
	v_cmp_gt_i32_e32 vcc, 1, v7
	v_cndmask_b32_e32 v5, v6, v5, vcc
	v_and_b32_e32 v6, 7, v5
	v_cmp_lt_i32_e32 vcc, 5, v6
	v_cmp_eq_u32_e64 s[0:1], 3, v6
	v_lshrrev_b32_e32 v5, 2, v5
	s_or_b64 vcc, s[0:1], vcc
	v_addc_co_u32_e32 v8, vcc, 0, v5, vcc
	v_add_u32_e32 v5, 0x200, v73
	ds_read2_b32 v[5:6], v5 offset0:124 offset1:187
	v_cmp_gt_i32_e32 vcc, 31, v7
	v_cndmask_b32_e32 v8, v0, v8, vcc
	v_cmp_ne_u32_e32 vcc, 0, v3
	v_cndmask_b32_e64 v3, 0, 1, vcc
	s_waitcnt lgkmcnt(0)
	v_lshrrev_b32_e32 v10, 16, v5
	v_mul_f16_sdwa v11, v85, v10 dst_sel:DWORD dst_unused:UNUSED_PAD src0_sel:WORD_1 src1_sel:DWORD
	v_fma_f16 v11, v85, v5, v11
	v_cvt_f32_f16_e32 v11, v11
	v_lshl_or_b32 v3, v3, 9, v0
	v_cmp_eq_u32_e32 vcc, s10, v7
	v_cndmask_b32_e32 v3, v8, v3, vcc
	v_cvt_f64_f32_e32 v[7:8], v11
	v_lshrrev_b32_e32 v4, 16, v4
	v_and_or_b32 v11, v4, s11, v3
	v_add_co_u32_e32 v1, vcc, s5, v1
	v_mul_f64 v[3:4], v[7:8], s[2:3]
	v_mov_b32_e32 v8, s4
	v_and_b32_e32 v9, 0xffff, v9
	v_addc_co_u32_e32 v2, vcc, v2, v8, vcc
	v_lshl_or_b32 v7, v11, 16, v9
	global_store_dword v[1:2], v7, off
	v_mul_f16_sdwa v5, v85, v5 dst_sel:DWORD dst_unused:UNUSED_PAD src0_sel:WORD_1 src1_sel:DWORD
	v_and_or_b32 v3, v4, s6, v3
	v_cmp_ne_u32_e32 vcc, 0, v3
	v_cndmask_b32_e64 v3, 0, 1, vcc
	v_lshrrev_b32_e32 v7, 8, v4
	v_bfe_u32 v8, v4, 20, 11
	v_and_or_b32 v3, v7, s7, v3
	v_sub_u32_e32 v9, 0x3f1, v8
	v_or_b32_e32 v7, 0x1000, v3
	v_med3_i32 v9, v9, 0, 13
	v_lshrrev_b32_e32 v11, v9, v7
	v_lshlrev_b32_e32 v9, v9, v11
	v_cmp_ne_u32_e32 vcc, v9, v7
	v_fma_f16 v5, v85, v10, -v5
	v_cndmask_b32_e64 v7, 0, 1, vcc
	v_add_u32_e32 v9, 0xfffffc10, v8
	v_cvt_f32_f16_e32 v5, v5
	v_or_b32_e32 v7, v11, v7
	v_lshl_or_b32 v8, v9, 12, v3
	v_cmp_gt_i32_e32 vcc, 1, v9
	v_cndmask_b32_e32 v7, v8, v7, vcc
	v_and_b32_e32 v8, 7, v7
	v_cmp_lt_i32_e32 vcc, 5, v8
	v_cmp_eq_u32_e64 s[0:1], 3, v8
	v_lshrrev_b32_e32 v10, 2, v7
	v_cvt_f64_f32_e32 v[7:8], v5
	s_or_b64 vcc, s[0:1], vcc
	v_addc_co_u32_e32 v5, vcc, 0, v10, vcc
	v_mul_f64 v[7:8], v[7:8], s[2:3]
	v_cmp_gt_i32_e32 vcc, 31, v9
	v_cndmask_b32_e32 v5, v0, v5, vcc
	v_cmp_ne_u32_e32 vcc, 0, v3
	v_cndmask_b32_e64 v3, 0, 1, vcc
	v_lshl_or_b32 v3, v3, 9, v0
	v_cmp_eq_u32_e32 vcc, s10, v9
	v_cndmask_b32_e32 v3, v5, v3, vcc
	v_lshrrev_b32_e32 v4, 16, v4
	v_and_or_b32 v5, v4, s11, v3
	v_and_or_b32 v3, v8, s6, v7
	v_cmp_ne_u32_e32 vcc, 0, v3
	v_cndmask_b32_e64 v3, 0, 1, vcc
	v_lshrrev_b32_e32 v4, 8, v8
	v_and_or_b32 v7, v4, s7, v3
	v_bfe_u32 v4, v8, 20, 11
	v_sub_u32_e32 v9, 0x3f1, v4
	v_or_b32_e32 v3, 0x1000, v7
	v_med3_i32 v9, v9, 0, 13
	v_lshrrev_b32_e32 v10, v9, v3
	v_lshlrev_b32_e32 v9, v9, v10
	v_cmp_ne_u32_e32 vcc, v9, v3
	v_cndmask_b32_e64 v3, 0, 1, vcc
	v_add_u32_e32 v9, 0xfffffc10, v4
	v_or_b32_e32 v3, v10, v3
	v_lshl_or_b32 v4, v9, 12, v7
	v_cmp_gt_i32_e32 vcc, 1, v9
	v_cndmask_b32_e32 v3, v4, v3, vcc
	v_and_b32_e32 v4, 7, v3
	v_cmp_lt_i32_e32 vcc, 5, v4
	v_cmp_eq_u32_e64 s[0:1], 3, v4
	v_lshrrev_b32_e32 v3, 2, v3
	s_or_b64 vcc, s[0:1], vcc
	v_addc_co_u32_e32 v10, vcc, 0, v3, vcc
	v_add_u32_e32 v3, 0xc00, v73
	ds_read2_b32 v[3:4], v3 offset0:114 offset1:177
	v_cmp_gt_i32_e32 vcc, 31, v9
	v_cndmask_b32_e32 v10, v0, v10, vcc
	v_cmp_ne_u32_e32 vcc, 0, v7
	v_cndmask_b32_e64 v7, 0, 1, vcc
	s_waitcnt lgkmcnt(0)
	v_lshrrev_b32_e32 v11, 16, v3
	v_mul_f16_sdwa v12, v84, v11 dst_sel:DWORD dst_unused:UNUSED_PAD src0_sel:WORD_1 src1_sel:DWORD
	v_fma_f16 v12, v84, v3, v12
	v_cvt_f32_f16_e32 v12, v12
	v_lshl_or_b32 v7, v7, 9, v0
	v_cmp_eq_u32_e32 vcc, s10, v9
	v_cndmask_b32_e32 v7, v10, v7, vcc
	v_cvt_f64_f32_e32 v[9:10], v12
	v_lshrrev_b32_e32 v8, 16, v8
	v_and_or_b32 v12, v8, s11, v7
	v_and_b32_e32 v5, 0xffff, v5
	v_mul_f64 v[7:8], v[9:10], s[2:3]
	v_mov_b32_e32 v9, s9
	v_add_co_u32_e32 v1, vcc, s8, v1
	v_lshl_or_b32 v5, v12, 16, v5
	v_addc_co_u32_e32 v2, vcc, v2, v9, vcc
	global_store_dword v[1:2], v5, off
	v_and_or_b32 v5, v8, s6, v7
	v_cmp_ne_u32_e32 vcc, 0, v5
	v_cndmask_b32_e64 v5, 0, 1, vcc
	v_lshrrev_b32_e32 v7, 8, v8
	v_bfe_u32 v9, v8, 20, 11
	v_and_or_b32 v5, v7, s7, v5
	v_sub_u32_e32 v10, 0x3f1, v9
	v_or_b32_e32 v7, 0x1000, v5
	v_med3_i32 v10, v10, 0, 13
	v_lshrrev_b32_e32 v12, v10, v7
	v_lshlrev_b32_e32 v10, v10, v12
	v_cmp_ne_u32_e32 vcc, v10, v7
	v_mul_f16_sdwa v3, v84, v3 dst_sel:DWORD dst_unused:UNUSED_PAD src0_sel:WORD_1 src1_sel:DWORD
	v_cndmask_b32_e64 v7, 0, 1, vcc
	v_fma_f16 v3, v84, v11, -v3
	v_or_b32_e32 v7, v12, v7
	v_add_u32_e32 v12, 0xfffffc10, v9
	v_cvt_f32_f16_e32 v3, v3
	v_lshl_or_b32 v9, v12, 12, v5
	v_cmp_gt_i32_e32 vcc, 1, v12
	v_cndmask_b32_e32 v7, v9, v7, vcc
	v_and_b32_e32 v9, 7, v7
	v_cmp_lt_i32_e32 vcc, 5, v9
	v_cmp_eq_u32_e64 s[0:1], 3, v9
	v_cvt_f64_f32_e32 v[9:10], v3
	v_lshrrev_b32_e32 v7, 2, v7
	s_or_b64 vcc, s[0:1], vcc
	v_addc_co_u32_e32 v3, vcc, 0, v7, vcc
	v_mul_f64 v[9:10], v[9:10], s[2:3]
	v_cmp_gt_i32_e32 vcc, 31, v12
	v_cndmask_b32_e32 v3, v0, v3, vcc
	v_cmp_ne_u32_e32 vcc, 0, v5
	v_cndmask_b32_e64 v5, 0, 1, vcc
	v_lshl_or_b32 v5, v5, 9, v0
	v_cmp_eq_u32_e32 vcc, s10, v12
	v_cndmask_b32_e32 v3, v3, v5, vcc
	v_lshrrev_b32_e32 v5, 16, v8
	v_and_or_b32 v3, v5, s11, v3
	v_and_or_b32 v5, v10, s6, v9
	v_cmp_ne_u32_e32 vcc, 0, v5
	v_cndmask_b32_e64 v5, 0, 1, vcc
	v_lshrrev_b32_e32 v7, 8, v10
	v_bfe_u32 v8, v10, 20, 11
	v_and_or_b32 v5, v7, s7, v5
	v_sub_u32_e32 v9, 0x3f1, v8
	v_or_b32_e32 v7, 0x1000, v5
	v_med3_i32 v9, v9, 0, 13
	v_lshrrev_b32_e32 v11, v9, v7
	v_lshlrev_b32_e32 v9, v9, v11
	v_cmp_ne_u32_e32 vcc, v9, v7
	v_cndmask_b32_e64 v7, 0, 1, vcc
	v_add_u32_e32 v8, 0xfffffc10, v8
	v_or_b32_e32 v7, v11, v7
	v_lshl_or_b32 v9, v8, 12, v5
	v_cmp_gt_i32_e32 vcc, 1, v8
	v_cndmask_b32_e32 v7, v9, v7, vcc
	v_and_b32_e32 v9, 7, v7
	v_cmp_lt_i32_e32 vcc, 5, v9
	v_cmp_eq_u32_e64 s[0:1], 3, v9
	v_lshrrev_b32_e32 v9, 16, v6
	v_lshrrev_b32_e32 v7, 2, v7
	s_or_b64 vcc, s[0:1], vcc
	v_mul_f16_sdwa v11, v83, v9 dst_sel:DWORD dst_unused:UNUSED_PAD src0_sel:WORD_1 src1_sel:DWORD
	v_addc_co_u32_e32 v7, vcc, 0, v7, vcc
	v_fma_f16 v11, v83, v6, v11
	v_cmp_gt_i32_e32 vcc, 31, v8
	v_cvt_f32_f16_e32 v11, v11
	v_cndmask_b32_e32 v7, v0, v7, vcc
	v_cmp_ne_u32_e32 vcc, 0, v5
	v_cndmask_b32_e64 v5, 0, 1, vcc
	v_lshl_or_b32 v5, v5, 9, v0
	v_cmp_eq_u32_e32 vcc, s10, v8
	v_cndmask_b32_e32 v5, v7, v5, vcc
	v_cvt_f64_f32_e32 v[7:8], v11
	v_lshrrev_b32_e32 v10, 16, v10
	v_and_or_b32 v5, v10, s11, v5
	v_and_b32_e32 v3, 0xffff, v3
	v_mul_f64 v[7:8], v[7:8], s[2:3]
	v_lshl_or_b32 v3, v5, 16, v3
	v_mov_b32_e32 v5, s4
	v_add_co_u32_e32 v1, vcc, s5, v1
	v_addc_co_u32_e32 v2, vcc, v2, v5, vcc
	global_store_dword v[1:2], v3, off
	v_and_or_b32 v3, v8, s6, v7
	v_cmp_ne_u32_e32 vcc, 0, v3
	v_cndmask_b32_e64 v3, 0, 1, vcc
	v_lshrrev_b32_e32 v5, 8, v8
	v_bfe_u32 v7, v8, 20, 11
	v_and_or_b32 v3, v5, s7, v3
	v_sub_u32_e32 v10, 0x3f1, v7
	v_or_b32_e32 v5, 0x1000, v3
	v_med3_i32 v10, v10, 0, 13
	v_lshrrev_b32_e32 v11, v10, v5
	v_mul_f16_sdwa v6, v83, v6 dst_sel:DWORD dst_unused:UNUSED_PAD src0_sel:WORD_1 src1_sel:DWORD
	v_lshlrev_b32_e32 v10, v10, v11
	v_fma_f16 v6, v83, v9, -v6
	v_cmp_ne_u32_e32 vcc, v10, v5
	v_cvt_f32_f16_e32 v6, v6
	v_cndmask_b32_e64 v5, 0, 1, vcc
	v_add_u32_e32 v7, 0xfffffc10, v7
	v_or_b32_e32 v5, v11, v5
	v_lshl_or_b32 v10, v7, 12, v3
	v_cmp_gt_i32_e32 vcc, 1, v7
	v_cndmask_b32_e32 v5, v10, v5, vcc
	v_and_b32_e32 v10, 7, v5
	v_lshrrev_b32_e32 v9, 2, v5
	v_cvt_f64_f32_e32 v[5:6], v6
	v_cmp_lt_i32_e32 vcc, 5, v10
	v_cmp_eq_u32_e64 s[0:1], 3, v10
	s_or_b64 vcc, s[0:1], vcc
	v_mul_f64 v[5:6], v[5:6], s[2:3]
	v_addc_co_u32_e32 v9, vcc, 0, v9, vcc
	v_cmp_gt_i32_e32 vcc, 31, v7
	v_cndmask_b32_e32 v9, v0, v9, vcc
	v_cmp_ne_u32_e32 vcc, 0, v3
	v_cndmask_b32_e64 v3, 0, 1, vcc
	v_lshl_or_b32 v3, v3, 9, v0
	v_cmp_eq_u32_e32 vcc, s10, v7
	v_and_or_b32 v5, v6, s6, v5
	v_cndmask_b32_e32 v3, v9, v3, vcc
	v_lshrrev_b32_e32 v7, 16, v8
	v_cmp_ne_u32_e32 vcc, 0, v5
	v_and_or_b32 v3, v7, s11, v3
	v_cndmask_b32_e64 v5, 0, 1, vcc
	v_lshrrev_b32_e32 v7, 8, v6
	v_bfe_u32 v8, v6, 20, 11
	v_and_or_b32 v5, v7, s7, v5
	v_sub_u32_e32 v9, 0x3f1, v8
	v_or_b32_e32 v7, 0x1000, v5
	v_med3_i32 v9, v9, 0, 13
	v_lshrrev_b32_e32 v10, v9, v7
	v_lshlrev_b32_e32 v9, v9, v10
	v_cmp_ne_u32_e32 vcc, v9, v7
	v_cndmask_b32_e64 v7, 0, 1, vcc
	v_add_u32_e32 v8, 0xfffffc10, v8
	v_or_b32_e32 v7, v10, v7
	v_lshl_or_b32 v9, v8, 12, v5
	v_cmp_gt_i32_e32 vcc, 1, v8
	v_cndmask_b32_e32 v7, v9, v7, vcc
	v_and_b32_e32 v9, 7, v7
	v_cmp_lt_i32_e32 vcc, 5, v9
	v_cmp_eq_u32_e64 s[0:1], 3, v9
	v_lshrrev_b32_e32 v9, 16, v4
	v_lshrrev_b32_e32 v7, 2, v7
	s_or_b64 vcc, s[0:1], vcc
	v_mul_f16_sdwa v10, v82, v9 dst_sel:DWORD dst_unused:UNUSED_PAD src0_sel:WORD_1 src1_sel:DWORD
	v_addc_co_u32_e32 v7, vcc, 0, v7, vcc
	v_fma_f16 v10, v82, v4, v10
	v_cmp_gt_i32_e32 vcc, 31, v8
	v_cvt_f32_f16_e32 v10, v10
	v_cndmask_b32_e32 v7, v0, v7, vcc
	v_cmp_ne_u32_e32 vcc, 0, v5
	v_cndmask_b32_e64 v5, 0, 1, vcc
	v_lshl_or_b32 v5, v5, 9, v0
	v_cmp_eq_u32_e32 vcc, s10, v8
	v_cndmask_b32_e32 v5, v7, v5, vcc
	v_cvt_f64_f32_e32 v[7:8], v10
	v_lshrrev_b32_e32 v6, 16, v6
	v_and_or_b32 v10, v6, s11, v5
	v_and_b32_e32 v3, 0xffff, v3
	v_mul_f64 v[5:6], v[7:8], s[2:3]
	v_mov_b32_e32 v7, s9
	v_add_co_u32_e32 v1, vcc, s8, v1
	v_lshl_or_b32 v3, v10, 16, v3
	v_addc_co_u32_e32 v2, vcc, v2, v7, vcc
	global_store_dword v[1:2], v3, off
	v_and_or_b32 v3, v6, s6, v5
	v_cmp_ne_u32_e32 vcc, 0, v3
	v_cndmask_b32_e64 v3, 0, 1, vcc
	v_lshrrev_b32_e32 v5, 8, v6
	v_bfe_u32 v7, v6, 20, 11
	v_and_or_b32 v5, v5, s7, v3
	v_sub_u32_e32 v8, 0x3f1, v7
	v_or_b32_e32 v3, 0x1000, v5
	v_med3_i32 v8, v8, 0, 13
	v_lshrrev_b32_e32 v10, v8, v3
	v_lshlrev_b32_e32 v8, v8, v10
	v_mul_f16_sdwa v4, v82, v4 dst_sel:DWORD dst_unused:UNUSED_PAD src0_sel:WORD_1 src1_sel:DWORD
	v_cmp_ne_u32_e32 vcc, v8, v3
	v_fma_f16 v4, v82, v9, -v4
	v_cndmask_b32_e64 v3, 0, 1, vcc
	v_add_u32_e32 v7, 0xfffffc10, v7
	v_cvt_f32_f16_e32 v4, v4
	v_or_b32_e32 v3, v10, v3
	v_lshl_or_b32 v8, v7, 12, v5
	v_cmp_gt_i32_e32 vcc, 1, v7
	v_cndmask_b32_e32 v3, v8, v3, vcc
	v_and_b32_e32 v8, 7, v3
	v_cmp_lt_i32_e32 vcc, 5, v8
	v_cmp_eq_u32_e64 s[0:1], 3, v8
	v_lshrrev_b32_e32 v8, 2, v3
	v_cvt_f64_f32_e32 v[3:4], v4
	s_or_b64 vcc, s[0:1], vcc
	v_addc_co_u32_e32 v8, vcc, 0, v8, vcc
	v_mul_f64 v[3:4], v[3:4], s[2:3]
	v_cmp_gt_i32_e32 vcc, 31, v7
	v_cndmask_b32_e32 v8, v0, v8, vcc
	v_cmp_ne_u32_e32 vcc, 0, v5
	v_cndmask_b32_e64 v5, 0, 1, vcc
	v_lshl_or_b32 v5, v5, 9, v0
	v_cmp_eq_u32_e32 vcc, s10, v7
	v_cndmask_b32_e32 v5, v8, v5, vcc
	v_and_or_b32 v3, v4, s6, v3
	v_lshrrev_b32_e32 v6, 16, v6
	v_cmp_ne_u32_e32 vcc, 0, v3
	v_and_or_b32 v9, v6, s11, v5
	v_cndmask_b32_e64 v3, 0, 1, vcc
	v_lshrrev_b32_e32 v5, 8, v4
	v_bfe_u32 v6, v4, 20, 11
	v_and_or_b32 v3, v5, s7, v3
	v_sub_u32_e32 v7, 0x3f1, v6
	v_or_b32_e32 v5, 0x1000, v3
	v_med3_i32 v7, v7, 0, 13
	v_lshrrev_b32_e32 v8, v7, v5
	v_lshlrev_b32_e32 v7, v7, v8
	v_cmp_ne_u32_e32 vcc, v7, v5
	v_cndmask_b32_e64 v5, 0, 1, vcc
	v_add_u32_e32 v7, 0xfffffc10, v6
	v_or_b32_e32 v5, v8, v5
	v_lshl_or_b32 v6, v7, 12, v3
	v_cmp_gt_i32_e32 vcc, 1, v7
	v_cndmask_b32_e32 v5, v6, v5, vcc
	v_and_b32_e32 v6, 7, v5
	v_cmp_lt_i32_e32 vcc, 5, v6
	v_cmp_eq_u32_e64 s[0:1], 3, v6
	v_lshrrev_b32_e32 v5, 2, v5
	s_or_b64 vcc, s[0:1], vcc
	v_addc_co_u32_e32 v8, vcc, 0, v5, vcc
	v_add_u32_e32 v5, 0x400, v73
	ds_read2_b32 v[5:6], v5 offset0:122 offset1:185
	v_cmp_gt_i32_e32 vcc, 31, v7
	v_cndmask_b32_e32 v8, v0, v8, vcc
	v_cmp_ne_u32_e32 vcc, 0, v3
	v_cndmask_b32_e64 v3, 0, 1, vcc
	s_waitcnt lgkmcnt(0)
	v_lshrrev_b32_e32 v10, 16, v5
	v_mul_f16_sdwa v11, v80, v10 dst_sel:DWORD dst_unused:UNUSED_PAD src0_sel:WORD_1 src1_sel:DWORD
	v_fma_f16 v11, v80, v5, v11
	v_cvt_f32_f16_e32 v11, v11
	v_lshl_or_b32 v3, v3, 9, v0
	v_cmp_eq_u32_e32 vcc, s10, v7
	v_cndmask_b32_e32 v3, v8, v3, vcc
	v_cvt_f64_f32_e32 v[7:8], v11
	v_lshrrev_b32_e32 v4, 16, v4
	v_and_or_b32 v11, v4, s11, v3
	v_add_co_u32_e32 v1, vcc, s5, v1
	v_mul_f64 v[3:4], v[7:8], s[2:3]
	v_mov_b32_e32 v8, s4
	v_and_b32_e32 v9, 0xffff, v9
	v_addc_co_u32_e32 v2, vcc, v2, v8, vcc
	v_lshl_or_b32 v7, v11, 16, v9
	global_store_dword v[1:2], v7, off
	v_mul_f16_sdwa v5, v80, v5 dst_sel:DWORD dst_unused:UNUSED_PAD src0_sel:WORD_1 src1_sel:DWORD
	v_and_or_b32 v3, v4, s6, v3
	v_cmp_ne_u32_e32 vcc, 0, v3
	v_cndmask_b32_e64 v3, 0, 1, vcc
	v_lshrrev_b32_e32 v7, 8, v4
	v_bfe_u32 v8, v4, 20, 11
	v_and_or_b32 v3, v7, s7, v3
	v_sub_u32_e32 v9, 0x3f1, v8
	v_or_b32_e32 v7, 0x1000, v3
	v_med3_i32 v9, v9, 0, 13
	v_lshrrev_b32_e32 v11, v9, v7
	v_lshlrev_b32_e32 v9, v9, v11
	v_cmp_ne_u32_e32 vcc, v9, v7
	v_fma_f16 v5, v80, v10, -v5
	v_cndmask_b32_e64 v7, 0, 1, vcc
	v_add_u32_e32 v9, 0xfffffc10, v8
	v_cvt_f32_f16_e32 v5, v5
	v_or_b32_e32 v7, v11, v7
	v_lshl_or_b32 v8, v9, 12, v3
	v_cmp_gt_i32_e32 vcc, 1, v9
	v_cndmask_b32_e32 v7, v8, v7, vcc
	v_and_b32_e32 v8, 7, v7
	v_cmp_lt_i32_e32 vcc, 5, v8
	v_cmp_eq_u32_e64 s[0:1], 3, v8
	v_lshrrev_b32_e32 v10, 2, v7
	v_cvt_f64_f32_e32 v[7:8], v5
	s_or_b64 vcc, s[0:1], vcc
	v_addc_co_u32_e32 v5, vcc, 0, v10, vcc
	v_mul_f64 v[7:8], v[7:8], s[2:3]
	v_cmp_gt_i32_e32 vcc, 31, v9
	v_cndmask_b32_e32 v5, v0, v5, vcc
	v_cmp_ne_u32_e32 vcc, 0, v3
	v_cndmask_b32_e64 v3, 0, 1, vcc
	v_lshl_or_b32 v3, v3, 9, v0
	v_cmp_eq_u32_e32 vcc, s10, v9
	v_cndmask_b32_e32 v3, v5, v3, vcc
	v_lshrrev_b32_e32 v4, 16, v4
	v_and_or_b32 v5, v4, s11, v3
	v_and_or_b32 v3, v8, s6, v7
	v_cmp_ne_u32_e32 vcc, 0, v3
	v_cndmask_b32_e64 v3, 0, 1, vcc
	v_lshrrev_b32_e32 v4, 8, v8
	v_and_or_b32 v7, v4, s7, v3
	v_bfe_u32 v4, v8, 20, 11
	v_sub_u32_e32 v9, 0x3f1, v4
	v_or_b32_e32 v3, 0x1000, v7
	v_med3_i32 v9, v9, 0, 13
	v_lshrrev_b32_e32 v10, v9, v3
	v_lshlrev_b32_e32 v9, v9, v10
	v_cmp_ne_u32_e32 vcc, v9, v3
	v_cndmask_b32_e64 v3, 0, 1, vcc
	v_add_u32_e32 v9, 0xfffffc10, v4
	v_or_b32_e32 v3, v10, v3
	v_lshl_or_b32 v4, v9, 12, v7
	v_cmp_gt_i32_e32 vcc, 1, v9
	v_cndmask_b32_e32 v3, v4, v3, vcc
	v_and_b32_e32 v4, 7, v3
	v_cmp_lt_i32_e32 vcc, 5, v4
	v_cmp_eq_u32_e64 s[0:1], 3, v4
	v_lshrrev_b32_e32 v3, 2, v3
	s_or_b64 vcc, s[0:1], vcc
	v_addc_co_u32_e32 v10, vcc, 0, v3, vcc
	v_add_u32_e32 v3, 0xe00, v73
	ds_read2_b32 v[3:4], v3 offset0:112 offset1:175
	v_cmp_gt_i32_e32 vcc, 31, v9
	v_cndmask_b32_e32 v10, v0, v10, vcc
	v_cmp_ne_u32_e32 vcc, 0, v7
	v_cndmask_b32_e64 v7, 0, 1, vcc
	s_waitcnt lgkmcnt(0)
	v_lshrrev_b32_e32 v11, 16, v3
	v_mul_f16_sdwa v12, v81, v11 dst_sel:DWORD dst_unused:UNUSED_PAD src0_sel:WORD_1 src1_sel:DWORD
	v_fma_f16 v12, v81, v3, v12
	v_cvt_f32_f16_e32 v12, v12
	v_lshl_or_b32 v7, v7, 9, v0
	v_cmp_eq_u32_e32 vcc, s10, v9
	v_cndmask_b32_e32 v7, v10, v7, vcc
	v_cvt_f64_f32_e32 v[9:10], v12
	v_lshrrev_b32_e32 v8, 16, v8
	v_and_or_b32 v12, v8, s11, v7
	v_and_b32_e32 v5, 0xffff, v5
	v_mul_f64 v[7:8], v[9:10], s[2:3]
	v_mov_b32_e32 v9, s9
	v_add_co_u32_e32 v1, vcc, s8, v1
	v_lshl_or_b32 v5, v12, 16, v5
	v_addc_co_u32_e32 v2, vcc, v2, v9, vcc
	global_store_dword v[1:2], v5, off
	v_and_or_b32 v5, v8, s6, v7
	v_cmp_ne_u32_e32 vcc, 0, v5
	v_cndmask_b32_e64 v5, 0, 1, vcc
	v_lshrrev_b32_e32 v7, 8, v8
	v_bfe_u32 v9, v8, 20, 11
	v_and_or_b32 v5, v7, s7, v5
	v_sub_u32_e32 v10, 0x3f1, v9
	v_or_b32_e32 v7, 0x1000, v5
	v_med3_i32 v10, v10, 0, 13
	v_lshrrev_b32_e32 v12, v10, v7
	v_lshlrev_b32_e32 v10, v10, v12
	v_cmp_ne_u32_e32 vcc, v10, v7
	v_mul_f16_sdwa v3, v81, v3 dst_sel:DWORD dst_unused:UNUSED_PAD src0_sel:WORD_1 src1_sel:DWORD
	v_cndmask_b32_e64 v7, 0, 1, vcc
	v_fma_f16 v3, v81, v11, -v3
	v_or_b32_e32 v7, v12, v7
	v_add_u32_e32 v12, 0xfffffc10, v9
	v_cvt_f32_f16_e32 v3, v3
	v_lshl_or_b32 v9, v12, 12, v5
	v_cmp_gt_i32_e32 vcc, 1, v12
	v_cndmask_b32_e32 v7, v9, v7, vcc
	v_and_b32_e32 v9, 7, v7
	v_cmp_lt_i32_e32 vcc, 5, v9
	v_cmp_eq_u32_e64 s[0:1], 3, v9
	v_cvt_f64_f32_e32 v[9:10], v3
	v_lshrrev_b32_e32 v7, 2, v7
	s_or_b64 vcc, s[0:1], vcc
	v_addc_co_u32_e32 v3, vcc, 0, v7, vcc
	v_mul_f64 v[9:10], v[9:10], s[2:3]
	v_cmp_gt_i32_e32 vcc, 31, v12
	v_cndmask_b32_e32 v3, v0, v3, vcc
	v_cmp_ne_u32_e32 vcc, 0, v5
	v_cndmask_b32_e64 v5, 0, 1, vcc
	v_lshl_or_b32 v5, v5, 9, v0
	v_cmp_eq_u32_e32 vcc, s10, v12
	v_cndmask_b32_e32 v3, v3, v5, vcc
	v_lshrrev_b32_e32 v5, 16, v8
	v_and_or_b32 v3, v5, s11, v3
	v_and_or_b32 v5, v10, s6, v9
	v_cmp_ne_u32_e32 vcc, 0, v5
	v_cndmask_b32_e64 v5, 0, 1, vcc
	v_lshrrev_b32_e32 v7, 8, v10
	v_bfe_u32 v8, v10, 20, 11
	v_and_or_b32 v5, v7, s7, v5
	v_sub_u32_e32 v9, 0x3f1, v8
	v_or_b32_e32 v7, 0x1000, v5
	v_med3_i32 v9, v9, 0, 13
	v_lshrrev_b32_e32 v11, v9, v7
	v_lshlrev_b32_e32 v9, v9, v11
	v_cmp_ne_u32_e32 vcc, v9, v7
	v_cndmask_b32_e64 v7, 0, 1, vcc
	v_add_u32_e32 v8, 0xfffffc10, v8
	v_or_b32_e32 v7, v11, v7
	v_lshl_or_b32 v9, v8, 12, v5
	v_cmp_gt_i32_e32 vcc, 1, v8
	v_cndmask_b32_e32 v7, v9, v7, vcc
	v_and_b32_e32 v9, 7, v7
	v_cmp_lt_i32_e32 vcc, 5, v9
	v_cmp_eq_u32_e64 s[0:1], 3, v9
	v_lshrrev_b32_e32 v9, 16, v6
	v_lshrrev_b32_e32 v7, 2, v7
	s_or_b64 vcc, s[0:1], vcc
	v_mul_f16_sdwa v11, v78, v9 dst_sel:DWORD dst_unused:UNUSED_PAD src0_sel:WORD_1 src1_sel:DWORD
	v_addc_co_u32_e32 v7, vcc, 0, v7, vcc
	v_fma_f16 v11, v78, v6, v11
	v_cmp_gt_i32_e32 vcc, 31, v8
	v_cvt_f32_f16_e32 v11, v11
	v_cndmask_b32_e32 v7, v0, v7, vcc
	v_cmp_ne_u32_e32 vcc, 0, v5
	v_cndmask_b32_e64 v5, 0, 1, vcc
	v_lshl_or_b32 v5, v5, 9, v0
	v_cmp_eq_u32_e32 vcc, s10, v8
	v_cndmask_b32_e32 v5, v7, v5, vcc
	v_cvt_f64_f32_e32 v[7:8], v11
	v_lshrrev_b32_e32 v10, 16, v10
	v_and_or_b32 v5, v10, s11, v5
	v_and_b32_e32 v3, 0xffff, v3
	v_mul_f64 v[7:8], v[7:8], s[2:3]
	v_lshl_or_b32 v3, v5, 16, v3
	v_mov_b32_e32 v5, s4
	v_add_co_u32_e32 v1, vcc, s5, v1
	v_addc_co_u32_e32 v2, vcc, v2, v5, vcc
	global_store_dword v[1:2], v3, off
	v_and_or_b32 v3, v8, s6, v7
	v_cmp_ne_u32_e32 vcc, 0, v3
	v_cndmask_b32_e64 v3, 0, 1, vcc
	v_lshrrev_b32_e32 v5, 8, v8
	v_bfe_u32 v7, v8, 20, 11
	v_and_or_b32 v3, v5, s7, v3
	v_sub_u32_e32 v10, 0x3f1, v7
	v_or_b32_e32 v5, 0x1000, v3
	v_med3_i32 v10, v10, 0, 13
	v_lshrrev_b32_e32 v11, v10, v5
	v_mul_f16_sdwa v6, v78, v6 dst_sel:DWORD dst_unused:UNUSED_PAD src0_sel:WORD_1 src1_sel:DWORD
	v_lshlrev_b32_e32 v10, v10, v11
	v_fma_f16 v6, v78, v9, -v6
	v_cmp_ne_u32_e32 vcc, v10, v5
	v_cvt_f32_f16_e32 v6, v6
	v_cndmask_b32_e64 v5, 0, 1, vcc
	v_add_u32_e32 v7, 0xfffffc10, v7
	v_or_b32_e32 v5, v11, v5
	v_lshl_or_b32 v10, v7, 12, v3
	v_cmp_gt_i32_e32 vcc, 1, v7
	v_cndmask_b32_e32 v5, v10, v5, vcc
	v_and_b32_e32 v10, 7, v5
	v_lshrrev_b32_e32 v9, 2, v5
	v_cvt_f64_f32_e32 v[5:6], v6
	v_cmp_lt_i32_e32 vcc, 5, v10
	v_cmp_eq_u32_e64 s[0:1], 3, v10
	s_or_b64 vcc, s[0:1], vcc
	v_mul_f64 v[5:6], v[5:6], s[2:3]
	v_addc_co_u32_e32 v9, vcc, 0, v9, vcc
	v_cmp_gt_i32_e32 vcc, 31, v7
	v_cndmask_b32_e32 v9, v0, v9, vcc
	v_cmp_ne_u32_e32 vcc, 0, v3
	v_cndmask_b32_e64 v3, 0, 1, vcc
	v_lshl_or_b32 v3, v3, 9, v0
	v_cmp_eq_u32_e32 vcc, s10, v7
	v_and_or_b32 v5, v6, s6, v5
	v_cndmask_b32_e32 v3, v9, v3, vcc
	v_lshrrev_b32_e32 v7, 16, v8
	v_cmp_ne_u32_e32 vcc, 0, v5
	v_and_or_b32 v3, v7, s11, v3
	v_cndmask_b32_e64 v5, 0, 1, vcc
	v_lshrrev_b32_e32 v7, 8, v6
	v_bfe_u32 v8, v6, 20, 11
	v_and_or_b32 v5, v7, s7, v5
	v_sub_u32_e32 v9, 0x3f1, v8
	v_or_b32_e32 v7, 0x1000, v5
	v_med3_i32 v9, v9, 0, 13
	v_lshrrev_b32_e32 v10, v9, v7
	v_lshlrev_b32_e32 v9, v9, v10
	v_cmp_ne_u32_e32 vcc, v9, v7
	v_cndmask_b32_e64 v7, 0, 1, vcc
	v_add_u32_e32 v8, 0xfffffc10, v8
	v_or_b32_e32 v7, v10, v7
	v_lshl_or_b32 v9, v8, 12, v5
	v_cmp_gt_i32_e32 vcc, 1, v8
	v_cndmask_b32_e32 v7, v9, v7, vcc
	v_and_b32_e32 v9, 7, v7
	v_cmp_lt_i32_e32 vcc, 5, v9
	v_cmp_eq_u32_e64 s[0:1], 3, v9
	v_lshrrev_b32_e32 v9, 16, v4
	v_lshrrev_b32_e32 v7, 2, v7
	s_or_b64 vcc, s[0:1], vcc
	v_mul_f16_sdwa v10, v79, v9 dst_sel:DWORD dst_unused:UNUSED_PAD src0_sel:WORD_1 src1_sel:DWORD
	v_addc_co_u32_e32 v7, vcc, 0, v7, vcc
	v_fma_f16 v10, v79, v4, v10
	v_cmp_gt_i32_e32 vcc, 31, v8
	v_cvt_f32_f16_e32 v10, v10
	v_cndmask_b32_e32 v7, v0, v7, vcc
	v_cmp_ne_u32_e32 vcc, 0, v5
	v_cndmask_b32_e64 v5, 0, 1, vcc
	v_lshl_or_b32 v5, v5, 9, v0
	v_cmp_eq_u32_e32 vcc, s10, v8
	v_cndmask_b32_e32 v5, v7, v5, vcc
	v_cvt_f64_f32_e32 v[7:8], v10
	v_lshrrev_b32_e32 v6, 16, v6
	v_and_or_b32 v10, v6, s11, v5
	v_and_b32_e32 v3, 0xffff, v3
	v_mul_f64 v[5:6], v[7:8], s[2:3]
	v_mov_b32_e32 v7, s9
	v_add_co_u32_e32 v1, vcc, s8, v1
	v_lshl_or_b32 v3, v10, 16, v3
	v_addc_co_u32_e32 v2, vcc, v2, v7, vcc
	global_store_dword v[1:2], v3, off
	v_and_or_b32 v3, v6, s6, v5
	v_cmp_ne_u32_e32 vcc, 0, v3
	v_cndmask_b32_e64 v3, 0, 1, vcc
	v_lshrrev_b32_e32 v5, 8, v6
	v_bfe_u32 v7, v6, 20, 11
	v_and_or_b32 v5, v5, s7, v3
	v_sub_u32_e32 v8, 0x3f1, v7
	v_or_b32_e32 v3, 0x1000, v5
	v_med3_i32 v8, v8, 0, 13
	v_lshrrev_b32_e32 v10, v8, v3
	v_lshlrev_b32_e32 v8, v8, v10
	v_mul_f16_sdwa v4, v79, v4 dst_sel:DWORD dst_unused:UNUSED_PAD src0_sel:WORD_1 src1_sel:DWORD
	v_cmp_ne_u32_e32 vcc, v8, v3
	v_fma_f16 v4, v79, v9, -v4
	v_cndmask_b32_e64 v3, 0, 1, vcc
	v_add_u32_e32 v7, 0xfffffc10, v7
	v_cvt_f32_f16_e32 v4, v4
	v_or_b32_e32 v3, v10, v3
	v_lshl_or_b32 v8, v7, 12, v5
	v_cmp_gt_i32_e32 vcc, 1, v7
	v_cndmask_b32_e32 v3, v8, v3, vcc
	v_and_b32_e32 v8, 7, v3
	v_cmp_lt_i32_e32 vcc, 5, v8
	v_cmp_eq_u32_e64 s[0:1], 3, v8
	v_lshrrev_b32_e32 v8, 2, v3
	v_cvt_f64_f32_e32 v[3:4], v4
	s_or_b64 vcc, s[0:1], vcc
	v_addc_co_u32_e32 v8, vcc, 0, v8, vcc
	v_mul_f64 v[3:4], v[3:4], s[2:3]
	v_cmp_gt_i32_e32 vcc, 31, v7
	v_cndmask_b32_e32 v8, v0, v8, vcc
	v_cmp_ne_u32_e32 vcc, 0, v5
	v_cndmask_b32_e64 v5, 0, 1, vcc
	v_lshl_or_b32 v5, v5, 9, v0
	v_cmp_eq_u32_e32 vcc, s10, v7
	v_cndmask_b32_e32 v5, v8, v5, vcc
	v_and_or_b32 v3, v4, s6, v3
	v_lshrrev_b32_e32 v6, 16, v6
	v_cmp_ne_u32_e32 vcc, 0, v3
	v_and_or_b32 v9, v6, s11, v5
	v_cndmask_b32_e64 v3, 0, 1, vcc
	v_lshrrev_b32_e32 v5, 8, v4
	v_bfe_u32 v6, v4, 20, 11
	v_and_or_b32 v3, v5, s7, v3
	v_sub_u32_e32 v7, 0x3f1, v6
	v_or_b32_e32 v5, 0x1000, v3
	v_med3_i32 v7, v7, 0, 13
	v_lshrrev_b32_e32 v8, v7, v5
	v_lshlrev_b32_e32 v7, v7, v8
	v_cmp_ne_u32_e32 vcc, v7, v5
	v_cndmask_b32_e64 v5, 0, 1, vcc
	v_add_u32_e32 v7, 0xfffffc10, v6
	v_or_b32_e32 v5, v8, v5
	v_lshl_or_b32 v6, v7, 12, v3
	v_cmp_gt_i32_e32 vcc, 1, v7
	v_cndmask_b32_e32 v5, v6, v5, vcc
	v_and_b32_e32 v6, 7, v5
	v_cmp_lt_i32_e32 vcc, 5, v6
	v_cmp_eq_u32_e64 s[0:1], 3, v6
	v_lshrrev_b32_e32 v5, 2, v5
	s_or_b64 vcc, s[0:1], vcc
	v_addc_co_u32_e32 v8, vcc, 0, v5, vcc
	v_add_u32_e32 v5, 0x600, v73
	ds_read2_b32 v[5:6], v5 offset0:120 offset1:183
	v_cmp_gt_i32_e32 vcc, 31, v7
	v_cndmask_b32_e32 v8, v0, v8, vcc
	v_cmp_ne_u32_e32 vcc, 0, v3
	v_cndmask_b32_e64 v3, 0, 1, vcc
	s_waitcnt lgkmcnt(0)
	v_lshrrev_b32_e32 v10, 16, v5
	v_mul_f16_sdwa v11, v76, v10 dst_sel:DWORD dst_unused:UNUSED_PAD src0_sel:WORD_1 src1_sel:DWORD
	v_fma_f16 v11, v76, v5, v11
	v_cvt_f32_f16_e32 v11, v11
	v_lshl_or_b32 v3, v3, 9, v0
	v_cmp_eq_u32_e32 vcc, s10, v7
	v_cndmask_b32_e32 v3, v8, v3, vcc
	v_cvt_f64_f32_e32 v[7:8], v11
	v_lshrrev_b32_e32 v4, 16, v4
	v_and_or_b32 v11, v4, s11, v3
	v_add_co_u32_e32 v1, vcc, s5, v1
	v_mul_f64 v[3:4], v[7:8], s[2:3]
	v_mov_b32_e32 v8, s4
	v_and_b32_e32 v9, 0xffff, v9
	v_addc_co_u32_e32 v2, vcc, v2, v8, vcc
	v_lshl_or_b32 v7, v11, 16, v9
	global_store_dword v[1:2], v7, off
	v_mul_f16_sdwa v5, v76, v5 dst_sel:DWORD dst_unused:UNUSED_PAD src0_sel:WORD_1 src1_sel:DWORD
	v_and_or_b32 v3, v4, s6, v3
	v_cmp_ne_u32_e32 vcc, 0, v3
	v_cndmask_b32_e64 v3, 0, 1, vcc
	v_lshrrev_b32_e32 v7, 8, v4
	v_bfe_u32 v8, v4, 20, 11
	v_and_or_b32 v3, v7, s7, v3
	v_sub_u32_e32 v9, 0x3f1, v8
	v_or_b32_e32 v7, 0x1000, v3
	v_med3_i32 v9, v9, 0, 13
	v_lshrrev_b32_e32 v11, v9, v7
	v_lshlrev_b32_e32 v9, v9, v11
	v_cmp_ne_u32_e32 vcc, v9, v7
	v_fma_f16 v5, v76, v10, -v5
	v_cndmask_b32_e64 v7, 0, 1, vcc
	v_add_u32_e32 v9, 0xfffffc10, v8
	v_cvt_f32_f16_e32 v5, v5
	v_or_b32_e32 v7, v11, v7
	v_lshl_or_b32 v8, v9, 12, v3
	v_cmp_gt_i32_e32 vcc, 1, v9
	v_cndmask_b32_e32 v7, v8, v7, vcc
	v_and_b32_e32 v8, 7, v7
	v_cmp_lt_i32_e32 vcc, 5, v8
	v_cmp_eq_u32_e64 s[0:1], 3, v8
	v_lshrrev_b32_e32 v10, 2, v7
	v_cvt_f64_f32_e32 v[7:8], v5
	s_or_b64 vcc, s[0:1], vcc
	v_addc_co_u32_e32 v5, vcc, 0, v10, vcc
	v_mul_f64 v[7:8], v[7:8], s[2:3]
	v_cmp_gt_i32_e32 vcc, 31, v9
	v_cndmask_b32_e32 v5, v0, v5, vcc
	v_cmp_ne_u32_e32 vcc, 0, v3
	v_cndmask_b32_e64 v3, 0, 1, vcc
	v_lshl_or_b32 v3, v3, 9, v0
	v_cmp_eq_u32_e32 vcc, s10, v9
	v_cndmask_b32_e32 v3, v5, v3, vcc
	v_lshrrev_b32_e32 v4, 16, v4
	v_and_or_b32 v5, v4, s11, v3
	v_and_or_b32 v3, v8, s6, v7
	v_cmp_ne_u32_e32 vcc, 0, v3
	v_cndmask_b32_e64 v3, 0, 1, vcc
	v_lshrrev_b32_e32 v4, 8, v8
	v_and_or_b32 v7, v4, s7, v3
	v_bfe_u32 v4, v8, 20, 11
	v_sub_u32_e32 v9, 0x3f1, v4
	v_or_b32_e32 v3, 0x1000, v7
	v_med3_i32 v9, v9, 0, 13
	v_lshrrev_b32_e32 v10, v9, v3
	v_lshlrev_b32_e32 v9, v9, v10
	v_cmp_ne_u32_e32 vcc, v9, v3
	v_cndmask_b32_e64 v3, 0, 1, vcc
	v_add_u32_e32 v9, 0xfffffc10, v4
	v_or_b32_e32 v3, v10, v3
	v_lshl_or_b32 v4, v9, 12, v7
	v_cmp_gt_i32_e32 vcc, 1, v9
	v_cndmask_b32_e32 v3, v4, v3, vcc
	v_and_b32_e32 v4, 7, v3
	v_cmp_lt_i32_e32 vcc, 5, v4
	v_cmp_eq_u32_e64 s[0:1], 3, v4
	v_lshrrev_b32_e32 v3, 2, v3
	s_or_b64 vcc, s[0:1], vcc
	v_addc_co_u32_e32 v10, vcc, 0, v3, vcc
	v_add_u32_e32 v3, 0x1000, v73
	ds_read2_b32 v[3:4], v3 offset0:110 offset1:173
	v_cmp_gt_i32_e32 vcc, 31, v9
	v_cndmask_b32_e32 v10, v0, v10, vcc
	v_cmp_ne_u32_e32 vcc, 0, v7
	v_cndmask_b32_e64 v7, 0, 1, vcc
	s_waitcnt lgkmcnt(0)
	v_lshrrev_b32_e32 v11, 16, v3
	v_mul_f16_sdwa v12, v77, v11 dst_sel:DWORD dst_unused:UNUSED_PAD src0_sel:WORD_1 src1_sel:DWORD
	v_fma_f16 v12, v77, v3, v12
	v_cvt_f32_f16_e32 v12, v12
	v_lshl_or_b32 v7, v7, 9, v0
	v_cmp_eq_u32_e32 vcc, s10, v9
	v_cndmask_b32_e32 v7, v10, v7, vcc
	v_cvt_f64_f32_e32 v[9:10], v12
	v_lshrrev_b32_e32 v8, 16, v8
	v_and_or_b32 v12, v8, s11, v7
	v_and_b32_e32 v5, 0xffff, v5
	v_mul_f64 v[7:8], v[9:10], s[2:3]
	v_mov_b32_e32 v9, s9
	v_add_co_u32_e32 v1, vcc, s8, v1
	v_lshl_or_b32 v5, v12, 16, v5
	v_addc_co_u32_e32 v2, vcc, v2, v9, vcc
	global_store_dword v[1:2], v5, off
	v_and_or_b32 v5, v8, s6, v7
	v_cmp_ne_u32_e32 vcc, 0, v5
	v_cndmask_b32_e64 v5, 0, 1, vcc
	v_lshrrev_b32_e32 v7, 8, v8
	v_bfe_u32 v9, v8, 20, 11
	v_and_or_b32 v5, v7, s7, v5
	v_sub_u32_e32 v10, 0x3f1, v9
	v_or_b32_e32 v7, 0x1000, v5
	v_med3_i32 v10, v10, 0, 13
	v_lshrrev_b32_e32 v12, v10, v7
	v_lshlrev_b32_e32 v10, v10, v12
	v_cmp_ne_u32_e32 vcc, v10, v7
	v_mul_f16_sdwa v3, v77, v3 dst_sel:DWORD dst_unused:UNUSED_PAD src0_sel:WORD_1 src1_sel:DWORD
	v_cndmask_b32_e64 v7, 0, 1, vcc
	v_fma_f16 v3, v77, v11, -v3
	v_or_b32_e32 v7, v12, v7
	v_add_u32_e32 v12, 0xfffffc10, v9
	v_cvt_f32_f16_e32 v3, v3
	v_lshl_or_b32 v9, v12, 12, v5
	v_cmp_gt_i32_e32 vcc, 1, v12
	v_cndmask_b32_e32 v7, v9, v7, vcc
	v_and_b32_e32 v9, 7, v7
	v_cmp_lt_i32_e32 vcc, 5, v9
	v_cmp_eq_u32_e64 s[0:1], 3, v9
	v_cvt_f64_f32_e32 v[9:10], v3
	v_lshrrev_b32_e32 v7, 2, v7
	s_or_b64 vcc, s[0:1], vcc
	v_addc_co_u32_e32 v3, vcc, 0, v7, vcc
	v_mul_f64 v[9:10], v[9:10], s[2:3]
	v_cmp_gt_i32_e32 vcc, 31, v12
	v_cndmask_b32_e32 v3, v0, v3, vcc
	v_cmp_ne_u32_e32 vcc, 0, v5
	v_cndmask_b32_e64 v5, 0, 1, vcc
	v_lshl_or_b32 v5, v5, 9, v0
	v_cmp_eq_u32_e32 vcc, s10, v12
	v_cndmask_b32_e32 v3, v3, v5, vcc
	v_lshrrev_b32_e32 v5, 16, v8
	v_and_or_b32 v3, v5, s11, v3
	v_and_or_b32 v5, v10, s6, v9
	v_cmp_ne_u32_e32 vcc, 0, v5
	v_cndmask_b32_e64 v5, 0, 1, vcc
	v_lshrrev_b32_e32 v7, 8, v10
	v_bfe_u32 v8, v10, 20, 11
	v_and_or_b32 v5, v7, s7, v5
	v_sub_u32_e32 v9, 0x3f1, v8
	v_or_b32_e32 v7, 0x1000, v5
	v_med3_i32 v9, v9, 0, 13
	v_lshrrev_b32_e32 v11, v9, v7
	v_lshlrev_b32_e32 v9, v9, v11
	v_cmp_ne_u32_e32 vcc, v9, v7
	v_cndmask_b32_e64 v7, 0, 1, vcc
	v_add_u32_e32 v8, 0xfffffc10, v8
	v_or_b32_e32 v7, v11, v7
	v_lshl_or_b32 v9, v8, 12, v5
	v_cmp_gt_i32_e32 vcc, 1, v8
	v_cndmask_b32_e32 v7, v9, v7, vcc
	v_and_b32_e32 v9, 7, v7
	v_cmp_lt_i32_e32 vcc, 5, v9
	v_cmp_eq_u32_e64 s[0:1], 3, v9
	v_lshrrev_b32_e32 v9, 16, v6
	v_lshrrev_b32_e32 v7, 2, v7
	s_or_b64 vcc, s[0:1], vcc
	v_mul_f16_sdwa v11, v74, v9 dst_sel:DWORD dst_unused:UNUSED_PAD src0_sel:WORD_1 src1_sel:DWORD
	v_addc_co_u32_e32 v7, vcc, 0, v7, vcc
	v_fma_f16 v11, v74, v6, v11
	v_cmp_gt_i32_e32 vcc, 31, v8
	v_cvt_f32_f16_e32 v11, v11
	v_cndmask_b32_e32 v7, v0, v7, vcc
	v_cmp_ne_u32_e32 vcc, 0, v5
	v_cndmask_b32_e64 v5, 0, 1, vcc
	v_lshl_or_b32 v5, v5, 9, v0
	v_cmp_eq_u32_e32 vcc, s10, v8
	v_cndmask_b32_e32 v5, v7, v5, vcc
	v_cvt_f64_f32_e32 v[7:8], v11
	v_lshrrev_b32_e32 v10, 16, v10
	v_and_or_b32 v5, v10, s11, v5
	v_and_b32_e32 v3, 0xffff, v3
	v_mul_f64 v[7:8], v[7:8], s[2:3]
	v_lshl_or_b32 v3, v5, 16, v3
	v_mov_b32_e32 v5, s4
	v_add_co_u32_e32 v1, vcc, s5, v1
	v_addc_co_u32_e32 v2, vcc, v2, v5, vcc
	global_store_dword v[1:2], v3, off
	v_and_or_b32 v3, v8, s6, v7
	v_cmp_ne_u32_e32 vcc, 0, v3
	v_cndmask_b32_e64 v3, 0, 1, vcc
	v_lshrrev_b32_e32 v5, 8, v8
	v_bfe_u32 v7, v8, 20, 11
	v_and_or_b32 v3, v5, s7, v3
	v_sub_u32_e32 v10, 0x3f1, v7
	v_or_b32_e32 v5, 0x1000, v3
	v_med3_i32 v10, v10, 0, 13
	v_lshrrev_b32_e32 v11, v10, v5
	v_mul_f16_sdwa v6, v74, v6 dst_sel:DWORD dst_unused:UNUSED_PAD src0_sel:WORD_1 src1_sel:DWORD
	v_lshlrev_b32_e32 v10, v10, v11
	v_fma_f16 v6, v74, v9, -v6
	v_cmp_ne_u32_e32 vcc, v10, v5
	v_cvt_f32_f16_e32 v6, v6
	v_cndmask_b32_e64 v5, 0, 1, vcc
	v_add_u32_e32 v7, 0xfffffc10, v7
	v_or_b32_e32 v5, v11, v5
	v_lshl_or_b32 v10, v7, 12, v3
	v_cmp_gt_i32_e32 vcc, 1, v7
	v_cndmask_b32_e32 v5, v10, v5, vcc
	v_and_b32_e32 v10, 7, v5
	v_lshrrev_b32_e32 v9, 2, v5
	v_cvt_f64_f32_e32 v[5:6], v6
	v_cmp_lt_i32_e32 vcc, 5, v10
	v_cmp_eq_u32_e64 s[0:1], 3, v10
	s_or_b64 vcc, s[0:1], vcc
	v_mul_f64 v[5:6], v[5:6], s[2:3]
	v_addc_co_u32_e32 v9, vcc, 0, v9, vcc
	v_cmp_gt_i32_e32 vcc, 31, v7
	v_cndmask_b32_e32 v9, v0, v9, vcc
	v_cmp_ne_u32_e32 vcc, 0, v3
	v_cndmask_b32_e64 v3, 0, 1, vcc
	v_lshl_or_b32 v3, v3, 9, v0
	v_cmp_eq_u32_e32 vcc, s10, v7
	v_and_or_b32 v5, v6, s6, v5
	v_cndmask_b32_e32 v3, v9, v3, vcc
	v_lshrrev_b32_e32 v7, 16, v8
	v_cmp_ne_u32_e32 vcc, 0, v5
	v_and_or_b32 v3, v7, s11, v3
	v_cndmask_b32_e64 v5, 0, 1, vcc
	v_lshrrev_b32_e32 v7, 8, v6
	v_bfe_u32 v8, v6, 20, 11
	v_and_or_b32 v5, v7, s7, v5
	v_sub_u32_e32 v9, 0x3f1, v8
	v_or_b32_e32 v7, 0x1000, v5
	v_med3_i32 v9, v9, 0, 13
	v_lshrrev_b32_e32 v10, v9, v7
	v_lshlrev_b32_e32 v9, v9, v10
	v_cmp_ne_u32_e32 vcc, v9, v7
	v_cndmask_b32_e64 v7, 0, 1, vcc
	v_add_u32_e32 v8, 0xfffffc10, v8
	v_or_b32_e32 v7, v10, v7
	v_lshl_or_b32 v9, v8, 12, v5
	v_cmp_gt_i32_e32 vcc, 1, v8
	v_cndmask_b32_e32 v7, v9, v7, vcc
	v_and_b32_e32 v9, 7, v7
	v_cmp_lt_i32_e32 vcc, 5, v9
	v_cmp_eq_u32_e64 s[0:1], 3, v9
	v_lshrrev_b32_e32 v9, 16, v4
	v_lshrrev_b32_e32 v7, 2, v7
	s_or_b64 vcc, s[0:1], vcc
	v_mul_f16_sdwa v10, v75, v9 dst_sel:DWORD dst_unused:UNUSED_PAD src0_sel:WORD_1 src1_sel:DWORD
	v_addc_co_u32_e32 v7, vcc, 0, v7, vcc
	v_fma_f16 v10, v75, v4, v10
	v_cmp_gt_i32_e32 vcc, 31, v8
	v_cvt_f32_f16_e32 v10, v10
	v_cndmask_b32_e32 v7, v0, v7, vcc
	v_cmp_ne_u32_e32 vcc, 0, v5
	v_cndmask_b32_e64 v5, 0, 1, vcc
	v_lshl_or_b32 v5, v5, 9, v0
	v_cmp_eq_u32_e32 vcc, s10, v8
	v_cndmask_b32_e32 v5, v7, v5, vcc
	v_cvt_f64_f32_e32 v[7:8], v10
	v_lshrrev_b32_e32 v6, 16, v6
	v_and_or_b32 v10, v6, s11, v5
	v_and_b32_e32 v3, 0xffff, v3
	v_mul_f64 v[5:6], v[7:8], s[2:3]
	v_mov_b32_e32 v7, s9
	v_add_co_u32_e32 v1, vcc, s8, v1
	v_lshl_or_b32 v3, v10, 16, v3
	v_addc_co_u32_e32 v2, vcc, v2, v7, vcc
	global_store_dword v[1:2], v3, off
	v_and_or_b32 v3, v6, s6, v5
	v_cmp_ne_u32_e32 vcc, 0, v3
	v_cndmask_b32_e64 v3, 0, 1, vcc
	v_lshrrev_b32_e32 v5, 8, v6
	v_bfe_u32 v7, v6, 20, 11
	v_and_or_b32 v5, v5, s7, v3
	v_sub_u32_e32 v8, 0x3f1, v7
	v_or_b32_e32 v3, 0x1000, v5
	v_med3_i32 v8, v8, 0, 13
	v_lshrrev_b32_e32 v10, v8, v3
	v_lshlrev_b32_e32 v8, v8, v10
	v_mul_f16_sdwa v4, v75, v4 dst_sel:DWORD dst_unused:UNUSED_PAD src0_sel:WORD_1 src1_sel:DWORD
	v_cmp_ne_u32_e32 vcc, v8, v3
	v_fma_f16 v4, v75, v9, -v4
	v_cndmask_b32_e64 v3, 0, 1, vcc
	v_add_u32_e32 v7, 0xfffffc10, v7
	v_cvt_f32_f16_e32 v4, v4
	v_or_b32_e32 v3, v10, v3
	v_lshl_or_b32 v8, v7, 12, v5
	v_cmp_gt_i32_e32 vcc, 1, v7
	v_cndmask_b32_e32 v3, v8, v3, vcc
	v_and_b32_e32 v8, 7, v3
	v_cmp_lt_i32_e32 vcc, 5, v8
	v_cmp_eq_u32_e64 s[0:1], 3, v8
	v_lshrrev_b32_e32 v8, 2, v3
	v_cvt_f64_f32_e32 v[3:4], v4
	s_or_b64 vcc, s[0:1], vcc
	v_addc_co_u32_e32 v8, vcc, 0, v8, vcc
	v_mul_f64 v[3:4], v[3:4], s[2:3]
	v_cmp_gt_i32_e32 vcc, 31, v7
	v_cndmask_b32_e32 v8, v0, v8, vcc
	v_cmp_ne_u32_e32 vcc, 0, v5
	v_cndmask_b32_e64 v5, 0, 1, vcc
	v_lshl_or_b32 v5, v5, 9, v0
	v_cmp_eq_u32_e32 vcc, s10, v7
	v_cndmask_b32_e32 v5, v8, v5, vcc
	v_and_or_b32 v3, v4, s6, v3
	v_lshrrev_b32_e32 v6, 16, v6
	v_cmp_ne_u32_e32 vcc, 0, v3
	v_and_or_b32 v5, v6, s11, v5
	v_cndmask_b32_e64 v3, 0, 1, vcc
	v_lshrrev_b32_e32 v6, 8, v4
	v_bfe_u32 v7, v4, 20, 11
	v_and_or_b32 v3, v6, s7, v3
	v_sub_u32_e32 v8, 0x3f1, v7
	v_or_b32_e32 v6, 0x1000, v3
	v_med3_i32 v8, v8, 0, 13
	v_lshrrev_b32_e32 v9, v8, v6
	v_lshlrev_b32_e32 v8, v8, v9
	v_cmp_ne_u32_e32 vcc, v8, v6
	v_cndmask_b32_e64 v6, 0, 1, vcc
	v_add_u32_e32 v7, 0xfffffc10, v7
	v_or_b32_e32 v6, v9, v6
	v_lshl_or_b32 v8, v7, 12, v3
	v_cmp_gt_i32_e32 vcc, 1, v7
	v_cndmask_b32_e32 v6, v8, v6, vcc
	v_and_b32_e32 v8, 7, v6
	v_cmp_lt_i32_e32 vcc, 5, v8
	v_cmp_eq_u32_e64 s[0:1], 3, v8
	v_lshrrev_b32_e32 v6, 2, v6
	s_or_b64 vcc, s[0:1], vcc
	v_addc_co_u32_e32 v6, vcc, 0, v6, vcc
	v_cmp_gt_i32_e32 vcc, 31, v7
	v_cndmask_b32_e32 v6, v0, v6, vcc
	v_cmp_ne_u32_e32 vcc, 0, v3
	v_cndmask_b32_e64 v3, 0, 1, vcc
	v_lshl_or_b32 v0, v3, 9, v0
	v_cmp_eq_u32_e32 vcc, s10, v7
	v_cndmask_b32_e32 v0, v6, v0, vcc
	v_lshrrev_b32_e32 v3, 16, v4
	v_and_or_b32 v0, v3, s11, v0
	v_and_b32_e32 v3, 0xffff, v5
	v_lshl_or_b32 v3, v0, 16, v3
	v_mov_b32_e32 v4, s4
	v_add_co_u32_e32 v0, vcc, s5, v1
	v_addc_co_u32_e32 v1, vcc, v2, v4, vcc
	global_store_dword v[0:1], v3, off
.LBB0_26:
	s_endpgm
	.section	.rodata,"a",@progbits
	.p2align	6, 0x0
	.amdhsa_kernel bluestein_single_back_len1260_dim1_half_op_CI_CI
		.amdhsa_group_segment_fixed_size 5040
		.amdhsa_private_segment_fixed_size 0
		.amdhsa_kernarg_size 104
		.amdhsa_user_sgpr_count 6
		.amdhsa_user_sgpr_private_segment_buffer 1
		.amdhsa_user_sgpr_dispatch_ptr 0
		.amdhsa_user_sgpr_queue_ptr 0
		.amdhsa_user_sgpr_kernarg_segment_ptr 1
		.amdhsa_user_sgpr_dispatch_id 0
		.amdhsa_user_sgpr_flat_scratch_init 0
		.amdhsa_user_sgpr_private_segment_size 0
		.amdhsa_uses_dynamic_stack 0
		.amdhsa_system_sgpr_private_segment_wavefront_offset 0
		.amdhsa_system_sgpr_workgroup_id_x 1
		.amdhsa_system_sgpr_workgroup_id_y 0
		.amdhsa_system_sgpr_workgroup_id_z 0
		.amdhsa_system_sgpr_workgroup_info 0
		.amdhsa_system_vgpr_workitem_id 0
		.amdhsa_next_free_vgpr 203
		.amdhsa_next_free_sgpr 21
		.amdhsa_reserve_vcc 1
		.amdhsa_reserve_flat_scratch 0
		.amdhsa_float_round_mode_32 0
		.amdhsa_float_round_mode_16_64 0
		.amdhsa_float_denorm_mode_32 3
		.amdhsa_float_denorm_mode_16_64 3
		.amdhsa_dx10_clamp 1
		.amdhsa_ieee_mode 1
		.amdhsa_fp16_overflow 0
		.amdhsa_exception_fp_ieee_invalid_op 0
		.amdhsa_exception_fp_denorm_src 0
		.amdhsa_exception_fp_ieee_div_zero 0
		.amdhsa_exception_fp_ieee_overflow 0
		.amdhsa_exception_fp_ieee_underflow 0
		.amdhsa_exception_fp_ieee_inexact 0
		.amdhsa_exception_int_div_zero 0
	.end_amdhsa_kernel
	.text
.Lfunc_end0:
	.size	bluestein_single_back_len1260_dim1_half_op_CI_CI, .Lfunc_end0-bluestein_single_back_len1260_dim1_half_op_CI_CI
                                        ; -- End function
	.section	.AMDGPU.csdata,"",@progbits
; Kernel info:
; codeLenInByte = 33672
; NumSgprs: 25
; NumVgprs: 203
; ScratchSize: 0
; MemoryBound: 0
; FloatMode: 240
; IeeeMode: 1
; LDSByteSize: 5040 bytes/workgroup (compile time only)
; SGPRBlocks: 3
; VGPRBlocks: 50
; NumSGPRsForWavesPerEU: 25
; NumVGPRsForWavesPerEU: 203
; Occupancy: 1
; WaveLimiterHint : 1
; COMPUTE_PGM_RSRC2:SCRATCH_EN: 0
; COMPUTE_PGM_RSRC2:USER_SGPR: 6
; COMPUTE_PGM_RSRC2:TRAP_HANDLER: 0
; COMPUTE_PGM_RSRC2:TGID_X_EN: 1
; COMPUTE_PGM_RSRC2:TGID_Y_EN: 0
; COMPUTE_PGM_RSRC2:TGID_Z_EN: 0
; COMPUTE_PGM_RSRC2:TIDIG_COMP_CNT: 0
	.type	__hip_cuid_f2a24cf84e523cc9,@object ; @__hip_cuid_f2a24cf84e523cc9
	.section	.bss,"aw",@nobits
	.globl	__hip_cuid_f2a24cf84e523cc9
__hip_cuid_f2a24cf84e523cc9:
	.byte	0                               ; 0x0
	.size	__hip_cuid_f2a24cf84e523cc9, 1

	.ident	"AMD clang version 19.0.0git (https://github.com/RadeonOpenCompute/llvm-project roc-6.4.0 25133 c7fe45cf4b819c5991fe208aaa96edf142730f1d)"
	.section	".note.GNU-stack","",@progbits
	.addrsig
	.addrsig_sym __hip_cuid_f2a24cf84e523cc9
	.amdgpu_metadata
---
amdhsa.kernels:
  - .args:
      - .actual_access:  read_only
        .address_space:  global
        .offset:         0
        .size:           8
        .value_kind:     global_buffer
      - .actual_access:  read_only
        .address_space:  global
        .offset:         8
        .size:           8
        .value_kind:     global_buffer
      - .actual_access:  read_only
        .address_space:  global
        .offset:         16
        .size:           8
        .value_kind:     global_buffer
      - .actual_access:  read_only
        .address_space:  global
        .offset:         24
        .size:           8
        .value_kind:     global_buffer
      - .actual_access:  read_only
        .address_space:  global
        .offset:         32
        .size:           8
        .value_kind:     global_buffer
      - .offset:         40
        .size:           8
        .value_kind:     by_value
      - .address_space:  global
        .offset:         48
        .size:           8
        .value_kind:     global_buffer
      - .address_space:  global
        .offset:         56
        .size:           8
        .value_kind:     global_buffer
      - .address_space:  global
        .offset:         64
        .size:           8
        .value_kind:     global_buffer
      - .address_space:  global
        .offset:         72
        .size:           8
        .value_kind:     global_buffer
      - .offset:         80
        .size:           4
        .value_kind:     by_value
      - .address_space:  global
        .offset:         88
        .size:           8
        .value_kind:     global_buffer
      - .address_space:  global
        .offset:         96
        .size:           8
        .value_kind:     global_buffer
    .group_segment_fixed_size: 5040
    .kernarg_segment_align: 8
    .kernarg_segment_size: 104
    .language:       OpenCL C
    .language_version:
      - 2
      - 0
    .max_flat_workgroup_size: 63
    .name:           bluestein_single_back_len1260_dim1_half_op_CI_CI
    .private_segment_fixed_size: 0
    .sgpr_count:     25
    .sgpr_spill_count: 0
    .symbol:         bluestein_single_back_len1260_dim1_half_op_CI_CI.kd
    .uniform_work_group_size: 1
    .uses_dynamic_stack: false
    .vgpr_count:     203
    .vgpr_spill_count: 0
    .wavefront_size: 64
amdhsa.target:   amdgcn-amd-amdhsa--gfx906
amdhsa.version:
  - 1
  - 2
...

	.end_amdgpu_metadata
